;; amdgpu-corpus repo=ROCm/rocFFT kind=compiled arch=gfx906 opt=O3
	.text
	.amdgcn_target "amdgcn-amd-amdhsa--gfx906"
	.amdhsa_code_object_version 6
	.protected	fft_rtc_fwd_len864_factors_3_6_16_3_wgs_54_tpt_54_halfLds_half_op_CI_CI_unitstride_sbrr_C2R_dirReg ; -- Begin function fft_rtc_fwd_len864_factors_3_6_16_3_wgs_54_tpt_54_halfLds_half_op_CI_CI_unitstride_sbrr_C2R_dirReg
	.globl	fft_rtc_fwd_len864_factors_3_6_16_3_wgs_54_tpt_54_halfLds_half_op_CI_CI_unitstride_sbrr_C2R_dirReg
	.p2align	8
	.type	fft_rtc_fwd_len864_factors_3_6_16_3_wgs_54_tpt_54_halfLds_half_op_CI_CI_unitstride_sbrr_C2R_dirReg,@function
fft_rtc_fwd_len864_factors_3_6_16_3_wgs_54_tpt_54_halfLds_half_op_CI_CI_unitstride_sbrr_C2R_dirReg: ; @fft_rtc_fwd_len864_factors_3_6_16_3_wgs_54_tpt_54_halfLds_half_op_CI_CI_unitstride_sbrr_C2R_dirReg
; %bb.0:
	s_load_dwordx4 s[8:11], s[4:5], 0x58
	s_load_dwordx4 s[12:15], s[4:5], 0x0
	;; [unrolled: 1-line block ×3, first 2 shown]
	v_mul_u32_u24_e32 v1, 0x4be, v0
	v_mov_b32_e32 v3, 0
	v_mov_b32_e32 v7, 0
	s_waitcnt lgkmcnt(0)
	v_cmp_lt_u64_e64 s[0:1], s[14:15], 2
	v_add_u32_sdwa v9, s6, v1 dst_sel:DWORD dst_unused:UNUSED_PAD src0_sel:DWORD src1_sel:WORD_1
	v_mov_b32_e32 v10, v3
	s_and_b64 vcc, exec, s[0:1]
	v_mov_b32_e32 v8, 0
	s_cbranch_vccnz .LBB0_8
; %bb.1:
	s_load_dwordx2 s[0:1], s[4:5], 0x10
	s_add_u32 s2, s18, 8
	s_addc_u32 s3, s19, 0
	s_add_u32 s6, s16, 8
	s_addc_u32 s7, s17, 0
	v_mov_b32_e32 v7, 0
	s_waitcnt lgkmcnt(0)
	s_add_u32 s20, s0, 8
	v_mov_b32_e32 v8, 0
	v_mov_b32_e32 v1, v7
	s_addc_u32 s21, s1, 0
	s_mov_b64 s[22:23], 1
	v_mov_b32_e32 v2, v8
.LBB0_2:                                ; =>This Inner Loop Header: Depth=1
	s_load_dwordx2 s[24:25], s[20:21], 0x0
                                        ; implicit-def: $vgpr5_vgpr6
	s_waitcnt lgkmcnt(0)
	v_or_b32_e32 v4, s25, v10
	v_cmp_ne_u64_e32 vcc, 0, v[3:4]
	s_and_saveexec_b64 s[0:1], vcc
	s_xor_b64 s[26:27], exec, s[0:1]
	s_cbranch_execz .LBB0_4
; %bb.3:                                ;   in Loop: Header=BB0_2 Depth=1
	v_cvt_f32_u32_e32 v4, s24
	v_cvt_f32_u32_e32 v5, s25
	s_sub_u32 s0, 0, s24
	s_subb_u32 s1, 0, s25
	v_mac_f32_e32 v4, 0x4f800000, v5
	v_rcp_f32_e32 v4, v4
	v_mul_f32_e32 v4, 0x5f7ffffc, v4
	v_mul_f32_e32 v5, 0x2f800000, v4
	v_trunc_f32_e32 v5, v5
	v_mac_f32_e32 v4, 0xcf800000, v5
	v_cvt_u32_f32_e32 v5, v5
	v_cvt_u32_f32_e32 v4, v4
	v_mul_lo_u32 v6, s0, v5
	v_mul_hi_u32 v11, s0, v4
	v_mul_lo_u32 v13, s1, v4
	v_mul_lo_u32 v12, s0, v4
	v_add_u32_e32 v6, v11, v6
	v_add_u32_e32 v6, v6, v13
	v_mul_hi_u32 v11, v4, v12
	v_mul_lo_u32 v13, v4, v6
	v_mul_hi_u32 v15, v4, v6
	v_mul_hi_u32 v14, v5, v12
	v_mul_lo_u32 v12, v5, v12
	v_mul_hi_u32 v16, v5, v6
	v_add_co_u32_e32 v11, vcc, v11, v13
	v_addc_co_u32_e32 v13, vcc, 0, v15, vcc
	v_mul_lo_u32 v6, v5, v6
	v_add_co_u32_e32 v11, vcc, v11, v12
	v_addc_co_u32_e32 v11, vcc, v13, v14, vcc
	v_addc_co_u32_e32 v12, vcc, 0, v16, vcc
	v_add_co_u32_e32 v6, vcc, v11, v6
	v_addc_co_u32_e32 v11, vcc, 0, v12, vcc
	v_add_co_u32_e32 v4, vcc, v4, v6
	v_addc_co_u32_e32 v5, vcc, v5, v11, vcc
	v_mul_lo_u32 v6, s0, v5
	v_mul_hi_u32 v11, s0, v4
	v_mul_lo_u32 v12, s1, v4
	v_mul_lo_u32 v13, s0, v4
	v_add_u32_e32 v6, v11, v6
	v_add_u32_e32 v6, v6, v12
	v_mul_lo_u32 v14, v4, v6
	v_mul_hi_u32 v15, v4, v13
	v_mul_hi_u32 v16, v4, v6
	v_mul_hi_u32 v12, v5, v13
	v_mul_lo_u32 v13, v5, v13
	v_mul_hi_u32 v11, v5, v6
	v_add_co_u32_e32 v14, vcc, v15, v14
	v_addc_co_u32_e32 v15, vcc, 0, v16, vcc
	v_mul_lo_u32 v6, v5, v6
	v_add_co_u32_e32 v13, vcc, v14, v13
	v_addc_co_u32_e32 v12, vcc, v15, v12, vcc
	v_addc_co_u32_e32 v11, vcc, 0, v11, vcc
	v_add_co_u32_e32 v6, vcc, v12, v6
	v_addc_co_u32_e32 v11, vcc, 0, v11, vcc
	v_add_co_u32_e32 v6, vcc, v4, v6
	v_addc_co_u32_e32 v11, vcc, v5, v11, vcc
	v_mad_u64_u32 v[4:5], s[0:1], v9, v11, 0
	v_mul_hi_u32 v12, v9, v6
	v_add_co_u32_e32 v13, vcc, v12, v4
	v_addc_co_u32_e32 v14, vcc, 0, v5, vcc
	v_mad_u64_u32 v[4:5], s[0:1], v10, v6, 0
	v_mad_u64_u32 v[11:12], s[0:1], v10, v11, 0
	v_add_co_u32_e32 v4, vcc, v13, v4
	v_addc_co_u32_e32 v4, vcc, v14, v5, vcc
	v_addc_co_u32_e32 v5, vcc, 0, v12, vcc
	v_add_co_u32_e32 v11, vcc, v4, v11
	v_addc_co_u32_e32 v6, vcc, 0, v5, vcc
	v_mul_lo_u32 v12, s25, v11
	v_mul_lo_u32 v13, s24, v6
	v_mad_u64_u32 v[4:5], s[0:1], s24, v11, 0
	v_add3_u32 v5, v5, v13, v12
	v_sub_u32_e32 v12, v10, v5
	v_mov_b32_e32 v13, s25
	v_sub_co_u32_e32 v4, vcc, v9, v4
	v_subb_co_u32_e64 v12, s[0:1], v12, v13, vcc
	v_subrev_co_u32_e64 v13, s[0:1], s24, v4
	v_subbrev_co_u32_e64 v12, s[0:1], 0, v12, s[0:1]
	v_cmp_le_u32_e64 s[0:1], s25, v12
	v_cndmask_b32_e64 v14, 0, -1, s[0:1]
	v_cmp_le_u32_e64 s[0:1], s24, v13
	v_cndmask_b32_e64 v13, 0, -1, s[0:1]
	v_cmp_eq_u32_e64 s[0:1], s25, v12
	v_cndmask_b32_e64 v12, v14, v13, s[0:1]
	v_add_co_u32_e64 v13, s[0:1], 2, v11
	v_addc_co_u32_e64 v14, s[0:1], 0, v6, s[0:1]
	v_add_co_u32_e64 v15, s[0:1], 1, v11
	v_addc_co_u32_e64 v16, s[0:1], 0, v6, s[0:1]
	v_subb_co_u32_e32 v5, vcc, v10, v5, vcc
	v_cmp_ne_u32_e64 s[0:1], 0, v12
	v_cmp_le_u32_e32 vcc, s25, v5
	v_cndmask_b32_e64 v12, v16, v14, s[0:1]
	v_cndmask_b32_e64 v14, 0, -1, vcc
	v_cmp_le_u32_e32 vcc, s24, v4
	v_cndmask_b32_e64 v4, 0, -1, vcc
	v_cmp_eq_u32_e32 vcc, s25, v5
	v_cndmask_b32_e32 v4, v14, v4, vcc
	v_cmp_ne_u32_e32 vcc, 0, v4
	v_cndmask_b32_e64 v4, v15, v13, s[0:1]
	v_cndmask_b32_e32 v6, v6, v12, vcc
	v_cndmask_b32_e32 v5, v11, v4, vcc
.LBB0_4:                                ;   in Loop: Header=BB0_2 Depth=1
	s_andn2_saveexec_b64 s[0:1], s[26:27]
	s_cbranch_execz .LBB0_6
; %bb.5:                                ;   in Loop: Header=BB0_2 Depth=1
	v_cvt_f32_u32_e32 v4, s24
	s_sub_i32 s26, 0, s24
	v_rcp_iflag_f32_e32 v4, v4
	v_mul_f32_e32 v4, 0x4f7ffffe, v4
	v_cvt_u32_f32_e32 v4, v4
	v_mul_lo_u32 v5, s26, v4
	v_mul_hi_u32 v5, v4, v5
	v_add_u32_e32 v4, v4, v5
	v_mul_hi_u32 v4, v9, v4
	v_mul_lo_u32 v5, v4, s24
	v_add_u32_e32 v6, 1, v4
	v_sub_u32_e32 v5, v9, v5
	v_subrev_u32_e32 v11, s24, v5
	v_cmp_le_u32_e32 vcc, s24, v5
	v_cndmask_b32_e32 v5, v5, v11, vcc
	v_cndmask_b32_e32 v4, v4, v6, vcc
	v_add_u32_e32 v6, 1, v4
	v_cmp_le_u32_e32 vcc, s24, v5
	v_cndmask_b32_e32 v5, v4, v6, vcc
	v_mov_b32_e32 v6, v3
.LBB0_6:                                ;   in Loop: Header=BB0_2 Depth=1
	s_or_b64 exec, exec, s[0:1]
	v_mul_lo_u32 v4, v6, s24
	v_mul_lo_u32 v13, v5, s25
	v_mad_u64_u32 v[11:12], s[0:1], v5, s24, 0
	s_load_dwordx2 s[0:1], s[6:7], 0x0
	s_load_dwordx2 s[24:25], s[2:3], 0x0
	v_add3_u32 v4, v12, v13, v4
	v_sub_co_u32_e32 v9, vcc, v9, v11
	v_subb_co_u32_e32 v4, vcc, v10, v4, vcc
	s_waitcnt lgkmcnt(0)
	v_mul_lo_u32 v10, s0, v4
	v_mul_lo_u32 v11, s1, v9
	v_mad_u64_u32 v[7:8], s[0:1], s0, v9, v[7:8]
	s_add_u32 s22, s22, 1
	s_addc_u32 s23, s23, 0
	s_add_u32 s2, s2, 8
	v_mul_lo_u32 v4, s24, v4
	v_mul_lo_u32 v12, s25, v9
	v_mad_u64_u32 v[1:2], s[0:1], s24, v9, v[1:2]
	v_add3_u32 v8, v11, v8, v10
	s_addc_u32 s3, s3, 0
	v_mov_b32_e32 v9, s14
	s_add_u32 s6, s6, 8
	v_mov_b32_e32 v10, s15
	s_addc_u32 s7, s7, 0
	v_cmp_ge_u64_e32 vcc, s[22:23], v[9:10]
	s_add_u32 s20, s20, 8
	v_add3_u32 v2, v12, v2, v4
	s_addc_u32 s21, s21, 0
	s_cbranch_vccnz .LBB0_9
; %bb.7:                                ;   in Loop: Header=BB0_2 Depth=1
	v_mov_b32_e32 v10, v6
	v_mov_b32_e32 v9, v5
	s_branch .LBB0_2
.LBB0_8:
	v_mov_b32_e32 v1, v7
	v_mov_b32_e32 v5, v9
	;; [unrolled: 1-line block ×4, first 2 shown]
.LBB0_9:
	s_load_dwordx2 s[0:1], s[4:5], 0x28
	s_lshl_b64 s[6:7], s[14:15], 3
	s_add_u32 s4, s18, s6
	s_addc_u32 s5, s19, s7
                                        ; implicit-def: $vgpr3
	s_waitcnt lgkmcnt(0)
	v_cmp_gt_u64_e32 vcc, s[0:1], v[5:6]
	v_cmp_le_u64_e64 s[0:1], s[0:1], v[5:6]
	s_and_saveexec_b64 s[2:3], s[0:1]
	s_xor_b64 s[0:1], exec, s[2:3]
; %bb.10:
	s_mov_b32 s2, 0x4bda130
	v_mul_hi_u32 v3, v0, s2
                                        ; implicit-def: $vgpr7_vgpr8
	v_mul_u32_u24_e32 v3, 54, v3
	v_sub_u32_e32 v3, v0, v3
                                        ; implicit-def: $vgpr0
; %bb.11:
	s_or_saveexec_b64 s[2:3], s[0:1]
	s_load_dwordx2 s[4:5], s[4:5], 0x0
	s_xor_b64 exec, exec, s[2:3]
	s_cbranch_execz .LBB0_15
; %bb.12:
	s_add_u32 s0, s16, s6
	s_addc_u32 s1, s17, s7
	s_load_dwordx2 s[0:1], s[0:1], 0x0
	s_mov_b32 s6, 0x4bda130
	v_mul_hi_u32 v3, v0, s6
	v_lshlrev_b64 v[7:8], 2, v[7:8]
	s_waitcnt lgkmcnt(0)
	v_mul_lo_u32 v4, s1, v5
	v_mul_lo_u32 v11, s0, v6
	v_mad_u64_u32 v[9:10], s[0:1], s0, v5, 0
	v_mul_u32_u24_e32 v3, 54, v3
	v_sub_u32_e32 v3, v0, v3
	v_add3_u32 v10, v10, v11, v4
	v_lshlrev_b64 v[9:10], 2, v[9:10]
	v_mov_b32_e32 v0, s9
	v_add_co_u32_e64 v4, s[0:1], s8, v9
	v_addc_co_u32_e64 v0, s[0:1], v0, v10, s[0:1]
	v_add_co_u32_e64 v7, s[0:1], v4, v7
	v_addc_co_u32_e64 v8, s[0:1], v0, v8, s[0:1]
	v_lshlrev_b32_e32 v0, 2, v3
	v_add_co_u32_e64 v9, s[0:1], v7, v0
	v_addc_co_u32_e64 v10, s[0:1], 0, v8, s[0:1]
	global_load_dword v4, v[9:10], off
	global_load_dword v11, v[9:10], off offset:216
	global_load_dword v12, v[9:10], off offset:432
	;; [unrolled: 1-line block ×14, first 2 shown]
	s_nop 0
	global_load_dword v9, v[9:10], off offset:3240
	v_add_u32_e32 v0, 0, v0
	v_cmp_eq_u32_e64 s[0:1], 53, v3
	v_add_u32_e32 v10, 0x200, v0
	v_add_u32_e32 v25, 0x400, v0
	;; [unrolled: 1-line block ×4, first 2 shown]
	s_waitcnt vmcnt(14)
	ds_write2_b32 v0, v4, v11 offset1:54
	s_waitcnt vmcnt(9)
	ds_write2_b32 v10, v16, v13 offset0:88 offset1:142
	s_waitcnt vmcnt(8)
	ds_write2_b32 v0, v12, v17 offset0:108 offset1:162
	ds_write2_b32 v25, v14, v15 offset0:68 offset1:122
	s_waitcnt vmcnt(6)
	ds_write2_b32 v25, v18, v19 offset0:176 offset1:230
	s_waitcnt vmcnt(4)
	;; [unrolled: 2-line block ×4, first 2 shown]
	ds_write2_b32 v27, v24, v9 offset0:116 offset1:170
	s_and_saveexec_b64 s[6:7], s[0:1]
	s_cbranch_execz .LBB0_14
; %bb.13:
	global_load_dword v0, v[7:8], off offset:3456
	v_mov_b32_e32 v3, 0
	s_waitcnt vmcnt(0)
	ds_write_b32 v3, v0 offset:3456
	v_mov_b32_e32 v3, 53
.LBB0_14:
	s_or_b64 exec, exec, s[6:7]
.LBB0_15:
	s_or_b64 exec, exec, s[2:3]
	v_lshlrev_b32_e32 v4, 2, v3
	v_add_u32_e32 v0, 0, v4
	s_waitcnt lgkmcnt(0)
	; wave barrier
	s_waitcnt lgkmcnt(0)
	v_sub_u32_e32 v9, 0, v4
	ds_read_u16 v12, v0
	ds_read_u16 v13, v9 offset:3456
	v_cmp_ne_u32_e64 s[0:1], 0, v3
                                        ; implicit-def: $vgpr7_vgpr8
	s_waitcnt lgkmcnt(0)
	v_add_f16_e32 v10, v13, v12
	v_sub_f16_e32 v11, v12, v13
	s_and_saveexec_b64 s[2:3], s[0:1]
	s_xor_b64 s[2:3], exec, s[2:3]
	s_cbranch_execz .LBB0_17
; %bb.16:
	v_mov_b32_e32 v4, 0
	v_lshlrev_b64 v[7:8], 2, v[3:4]
	v_mov_b32_e32 v10, s13
	v_add_co_u32_e64 v7, s[0:1], s12, v7
	v_addc_co_u32_e64 v8, s[0:1], v10, v8, s[0:1]
	global_load_dword v7, v[7:8], off offset:3444
	ds_read_u16 v8, v9 offset:3458
	ds_read_u16 v10, v0 offset:2
	v_add_f16_e32 v11, v13, v12
	v_sub_f16_e32 v12, v12, v13
	s_waitcnt lgkmcnt(0)
	v_add_f16_e32 v13, v8, v10
	v_sub_f16_e32 v8, v10, v8
	s_waitcnt vmcnt(0)
	v_lshrrev_b32_e32 v10, 16, v7
	v_fma_f16 v14, v12, v10, v11
	v_fma_f16 v15, v13, v10, v8
	v_fma_f16 v16, -v12, v10, v11
	v_fma_f16 v8, v13, v10, -v8
	v_fma_f16 v10, -v7, v13, v14
	v_fma_f16 v11, v12, v7, v15
	v_fma_f16 v13, v7, v13, v16
	;; [unrolled: 1-line block ×3, first 2 shown]
	v_pack_b32_f16 v7, v13, v7
	ds_write_b32 v9, v7 offset:3456
	v_mov_b32_e32 v8, v4
	v_mov_b32_e32 v7, v3
.LBB0_17:
	s_andn2_saveexec_b64 s[0:1], s[2:3]
	s_cbranch_execz .LBB0_19
; %bb.18:
	v_mov_b32_e32 v4, 0
	ds_read_b32 v7, v4 offset:1728
	s_mov_b32 s2, 0xc0004000
	s_waitcnt lgkmcnt(0)
	v_pk_mul_f16 v12, v7, s2
	v_mov_b32_e32 v7, 0
	v_mov_b32_e32 v8, 0
	ds_write_b32 v4, v12 offset:1728
.LBB0_19:
	s_or_b64 exec, exec, s[0:1]
	s_add_u32 s0, s12, 0xd74
	v_lshlrev_b64 v[7:8], 2, v[7:8]
	s_addc_u32 s1, s13, 0
	v_mov_b32_e32 v4, s1
	v_add_co_u32_e64 v7, s[0:1], s0, v7
	v_addc_co_u32_e64 v8, s[0:1], v4, v8, s[0:1]
	global_load_dword v4, v[7:8], off offset:216
	global_load_dword v12, v[7:8], off offset:432
	;; [unrolled: 1-line block ×4, first 2 shown]
	s_mov_b32 s0, 0x5040100
	v_perm_b32 v10, v11, v10, s0
	ds_write_b32 v0, v10
	ds_read_b32 v10, v0 offset:216
	ds_read_b32 v11, v9 offset:3240
	global_load_dword v15, v[7:8], off offset:1080
	global_load_dword v16, v[7:8], off offset:1296
	;; [unrolled: 1-line block ×3, first 2 shown]
	s_movk_i32 s0, 0x3aee
	s_mov_b32 s6, 0xffff
	s_waitcnt lgkmcnt(0)
	v_add_f16_e32 v7, v10, v11
	v_add_f16_sdwa v8, v11, v10 dst_sel:DWORD dst_unused:UNUSED_PAD src0_sel:WORD_1 src1_sel:WORD_1
	v_sub_f16_e32 v18, v10, v11
	v_sub_f16_sdwa v10, v10, v11 dst_sel:DWORD dst_unused:UNUSED_PAD src0_sel:WORD_1 src1_sel:WORD_1
	s_waitcnt vmcnt(6)
	v_lshrrev_b32_e32 v11, 16, v4
	v_fma_f16 v19, v18, v11, v7
	v_fma_f16 v20, v8, v11, v10
	v_fma_f16 v7, -v18, v11, v7
	v_fma_f16 v10, v8, v11, -v10
	v_fma_f16 v11, -v4, v8, v19
	v_fma_f16 v19, v18, v4, v20
	v_fma_f16 v7, v4, v8, v7
	;; [unrolled: 1-line block ×3, first 2 shown]
	v_pack_b32_f16 v8, v11, v19
	v_pack_b32_f16 v4, v7, v4
	ds_write_b32 v0, v8 offset:216
	ds_write_b32 v9, v4 offset:3240
	ds_read_b32 v4, v0 offset:432
	ds_read_b32 v7, v9 offset:3024
	s_waitcnt vmcnt(5)
	v_lshrrev_b32_e32 v8, 16, v12
	s_waitcnt lgkmcnt(0)
	v_add_f16_e32 v10, v4, v7
	v_add_f16_sdwa v11, v7, v4 dst_sel:DWORD dst_unused:UNUSED_PAD src0_sel:WORD_1 src1_sel:WORD_1
	v_sub_f16_e32 v18, v4, v7
	v_sub_f16_sdwa v4, v4, v7 dst_sel:DWORD dst_unused:UNUSED_PAD src0_sel:WORD_1 src1_sel:WORD_1
	v_fma_f16 v7, v18, v8, v10
	v_fma_f16 v19, v11, v8, v4
	v_fma_f16 v10, -v18, v8, v10
	v_fma_f16 v4, v11, v8, -v4
	v_fma_f16 v7, -v12, v11, v7
	v_fma_f16 v8, v18, v12, v19
	v_fma_f16 v10, v12, v11, v10
	v_fma_f16 v4, v18, v12, v4
	v_pack_b32_f16 v7, v7, v8
	v_pack_b32_f16 v4, v10, v4
	ds_write_b32 v0, v7 offset:432
	ds_write_b32 v9, v4 offset:3024
	ds_read_b32 v4, v0 offset:648
	ds_read_b32 v7, v9 offset:2808
	s_waitcnt vmcnt(4)
	v_lshrrev_b32_e32 v8, 16, v13
	s_waitcnt lgkmcnt(0)
	v_add_f16_e32 v10, v4, v7
	v_add_f16_sdwa v11, v7, v4 dst_sel:DWORD dst_unused:UNUSED_PAD src0_sel:WORD_1 src1_sel:WORD_1
	v_sub_f16_e32 v12, v4, v7
	v_sub_f16_sdwa v4, v4, v7 dst_sel:DWORD dst_unused:UNUSED_PAD src0_sel:WORD_1 src1_sel:WORD_1
	v_fma_f16 v7, v12, v8, v10
	v_fma_f16 v18, v11, v8, v4
	v_fma_f16 v10, -v12, v8, v10
	v_fma_f16 v4, v11, v8, -v4
	v_fma_f16 v7, -v13, v11, v7
	v_fma_f16 v8, v12, v13, v18
	v_fma_f16 v10, v13, v11, v10
	;; [unrolled: 1-line block ×3, first 2 shown]
	v_pack_b32_f16 v7, v7, v8
	v_pack_b32_f16 v4, v10, v4
	ds_write_b32 v0, v7 offset:648
	ds_write_b32 v9, v4 offset:2808
	ds_read_b32 v4, v0 offset:864
	ds_read_b32 v7, v9 offset:2592
	s_waitcnt vmcnt(3)
	v_lshrrev_b32_e32 v8, 16, v14
	v_add_u32_e32 v18, 0xc00, v0
	s_waitcnt lgkmcnt(0)
	v_add_f16_e32 v10, v4, v7
	v_add_f16_sdwa v11, v7, v4 dst_sel:DWORD dst_unused:UNUSED_PAD src0_sel:WORD_1 src1_sel:WORD_1
	v_sub_f16_e32 v12, v4, v7
	v_sub_f16_sdwa v4, v4, v7 dst_sel:DWORD dst_unused:UNUSED_PAD src0_sel:WORD_1 src1_sel:WORD_1
	v_fma_f16 v7, v12, v8, v10
	v_fma_f16 v13, v11, v8, v4
	v_fma_f16 v10, -v12, v8, v10
	v_fma_f16 v4, v11, v8, -v4
	v_fma_f16 v7, -v14, v11, v7
	v_fma_f16 v8, v12, v14, v13
	v_fma_f16 v10, v14, v11, v10
	v_fma_f16 v4, v12, v14, v4
	v_pack_b32_f16 v7, v7, v8
	v_pack_b32_f16 v4, v10, v4
	ds_write_b32 v0, v7 offset:864
	ds_write_b32 v9, v4 offset:2592
	ds_read_b32 v4, v0 offset:1080
	ds_read_b32 v7, v9 offset:2376
	s_waitcnt vmcnt(2)
	v_lshrrev_b32_e32 v8, 16, v15
	s_waitcnt lgkmcnt(0)
	v_add_f16_e32 v10, v4, v7
	v_add_f16_sdwa v11, v7, v4 dst_sel:DWORD dst_unused:UNUSED_PAD src0_sel:WORD_1 src1_sel:WORD_1
	v_sub_f16_e32 v12, v4, v7
	v_sub_f16_sdwa v4, v4, v7 dst_sel:DWORD dst_unused:UNUSED_PAD src0_sel:WORD_1 src1_sel:WORD_1
	v_fma_f16 v7, v12, v8, v10
	v_fma_f16 v13, v11, v8, v4
	v_fma_f16 v10, -v12, v8, v10
	v_fma_f16 v4, v11, v8, -v4
	v_fma_f16 v7, -v15, v11, v7
	v_fma_f16 v8, v12, v15, v13
	v_fma_f16 v10, v15, v11, v10
	v_fma_f16 v4, v12, v15, v4
	v_pack_b32_f16 v7, v7, v8
	v_pack_b32_f16 v4, v10, v4
	ds_write_b32 v0, v7 offset:1080
	ds_write_b32 v9, v4 offset:2376
	ds_read_b32 v4, v0 offset:1296
	ds_read_b32 v7, v9 offset:2160
	s_waitcnt vmcnt(1)
	v_lshrrev_b32_e32 v8, 16, v16
	s_waitcnt lgkmcnt(0)
	v_add_f16_e32 v10, v4, v7
	v_add_f16_sdwa v11, v7, v4 dst_sel:DWORD dst_unused:UNUSED_PAD src0_sel:WORD_1 src1_sel:WORD_1
	v_sub_f16_e32 v12, v4, v7
	v_sub_f16_sdwa v4, v4, v7 dst_sel:DWORD dst_unused:UNUSED_PAD src0_sel:WORD_1 src1_sel:WORD_1
	v_fma_f16 v7, v12, v8, v10
	v_fma_f16 v13, v11, v8, v4
	v_fma_f16 v10, -v12, v8, v10
	v_fma_f16 v4, v11, v8, -v4
	v_fma_f16 v7, -v16, v11, v7
	v_fma_f16 v8, v12, v16, v13
	v_fma_f16 v10, v16, v11, v10
	v_fma_f16 v4, v12, v16, v4
	v_pack_b32_f16 v7, v7, v8
	v_pack_b32_f16 v4, v10, v4
	ds_write_b32 v0, v7 offset:1296
	ds_write_b32 v9, v4 offset:2160
	ds_read_b32 v4, v0 offset:1512
	ds_read_b32 v7, v9 offset:1944
	s_waitcnt vmcnt(0)
	v_lshrrev_b32_e32 v8, 16, v17
	s_waitcnt lgkmcnt(0)
	v_add_f16_e32 v10, v4, v7
	v_add_f16_sdwa v11, v7, v4 dst_sel:DWORD dst_unused:UNUSED_PAD src0_sel:WORD_1 src1_sel:WORD_1
	v_sub_f16_e32 v12, v4, v7
	v_sub_f16_sdwa v4, v4, v7 dst_sel:DWORD dst_unused:UNUSED_PAD src0_sel:WORD_1 src1_sel:WORD_1
	v_fma_f16 v7, v12, v8, v10
	v_fma_f16 v13, v11, v8, v4
	v_fma_f16 v10, -v12, v8, v10
	v_fma_f16 v4, v11, v8, -v4
	v_fma_f16 v7, -v17, v11, v7
	v_fma_f16 v8, v12, v17, v13
	v_fma_f16 v10, v17, v11, v10
	;; [unrolled: 1-line block ×3, first 2 shown]
	v_pack_b32_f16 v7, v7, v8
	v_pack_b32_f16 v4, v10, v4
	ds_write_b32 v0, v7 offset:1512
	ds_write_b32 v9, v4 offset:1944
	v_add_u32_e32 v4, 0x200, v0
	s_waitcnt lgkmcnt(0)
	; wave barrier
	s_waitcnt lgkmcnt(0)
	s_waitcnt lgkmcnt(0)
	; wave barrier
	s_waitcnt lgkmcnt(0)
	ds_read2_b32 v[7:8], v4 offset0:88 offset1:142
	v_add_u32_e32 v4, 0x600, v0
	v_add_u32_e32 v13, 0x400, v0
	ds_read2_b32 v[9:10], v4 offset0:120 offset1:174
	v_add_u32_e32 v4, 0x800, v0
	ds_read2_b32 v[11:12], v13 offset0:140 offset1:194
	ds_read2_b32 v[14:15], v4 offset0:172 offset1:226
	;; [unrolled: 1-line block ×4, first 2 shown]
	s_waitcnt lgkmcnt(2)
	v_pk_add_f16 v20, v11, v14
	v_pk_add_f16 v21, v11, v14 neg_lo:[0,1] neg_hi:[0,1]
	s_waitcnt lgkmcnt(1)
	v_pk_fma_f16 v20, v20, 0.5, v16 op_sel_hi:[1,0,1] neg_lo:[1,0,0] neg_hi:[1,0,0]
	v_pk_mul_f16 v21, v21, s0 op_sel_hi:[1,0]
	v_pk_add_f16 v11, v16, v11
	v_pk_add_f16 v26, v20, v21 op_sel:[0,1] op_sel_hi:[1,0]
	v_pk_add_f16 v27, v20, v21 op_sel:[0,1] op_sel_hi:[1,0] neg_lo:[0,1] neg_hi:[0,1]
	v_pk_add_f16 v14, v11, v14
	v_lshl_add_u32 v11, v3, 3, v0
	ds_read2_b32 v[20:21], v0 offset1:54
	ds_read2_b32 v[22:23], v13 offset0:32 offset1:86
	ds_read2_b32 v[24:25], v4 offset0:64 offset1:118
	v_add_u32_e32 v16, 0x510, v11
	v_bfi_b32 v28, s6, v26, v27
	s_waitcnt lgkmcnt(0)
	; wave barrier
	s_waitcnt lgkmcnt(0)
	ds_write2_b32 v16, v14, v28 offset1:1
	v_pk_add_f16 v14, v17, v12
	v_pk_add_f16 v16, v12, v15
	v_pk_add_f16 v12, v12, v15 neg_lo:[0,1] neg_hi:[0,1]
	v_pk_add_f16 v14, v14, v15
	v_pk_fma_f16 v15, v16, 0.5, v17 op_sel_hi:[1,0,1] neg_lo:[1,0,0] neg_hi:[1,0,0]
	v_pk_mul_f16 v12, v12, s0 op_sel_hi:[1,0]
	v_pk_add_f16 v17, v15, v12 op_sel:[0,1] op_sel_hi:[1,0]
	v_pk_add_f16 v12, v15, v12 op_sel:[0,1] op_sel_hi:[1,0] neg_lo:[0,1] neg_hi:[0,1]
	v_add_u32_e32 v15, 0x798, v11
	v_bfi_b32 v16, s6, v17, v12
	ds_write2_b32 v15, v14, v16 offset1:1
	v_pk_add_f16 v15, v22, v24
	v_pk_add_f16 v16, v22, v24 neg_lo:[0,1] neg_hi:[0,1]
	v_pk_add_f16 v28, v23, v25
	v_pk_fma_f16 v15, v15, 0.5, v20 op_sel_hi:[1,0,1] neg_lo:[1,0,0] neg_hi:[1,0,0]
	v_pk_mul_f16 v16, v16, s0 op_sel_hi:[1,0]
	v_pk_add_f16 v14, v20, v22
	v_pk_add_f16 v22, v21, v23
	v_pk_fma_f16 v20, v28, 0.5, v21 op_sel_hi:[1,0,1] neg_lo:[1,0,0] neg_hi:[1,0,0]
	v_pk_add_f16 v21, v15, v16 op_sel:[0,1] op_sel_hi:[1,0]
	v_pk_add_f16 v15, v15, v16 op_sel:[0,1] op_sel_hi:[1,0] neg_lo:[0,1] neg_hi:[0,1]
	v_pk_add_f16 v23, v23, v25 neg_lo:[0,1] neg_hi:[0,1]
	v_pk_add_f16 v14, v14, v24
	v_bfi_b32 v16, s6, v21, v15
	ds_write2_b32 v11, v14, v16 offset1:1
	v_pk_mul_f16 v14, v23, s0 op_sel_hi:[1,0]
	v_pk_add_f16 v23, v20, v14 op_sel:[0,1] op_sel_hi:[1,0]
	v_pk_add_f16 v14, v20, v14 op_sel:[0,1] op_sel_hi:[1,0] neg_lo:[0,1] neg_hi:[0,1]
	v_pk_add_f16 v22, v22, v25
	v_bfi_b32 v16, s6, v23, v14
	ds_write2_b32 v11, v22, v16 offset0:162 offset1:163
	v_pk_add_f16 v16, v9, v18
	v_pk_fma_f16 v20, v16, 0.5, v7 op_sel_hi:[1,0,1] neg_lo:[1,0,0] neg_hi:[1,0,0]
	v_pk_add_f16 v16, v10, v19
	v_pk_add_f16 v7, v7, v9
	v_pk_add_f16 v9, v9, v18 neg_lo:[0,1] neg_hi:[0,1]
	v_pk_fma_f16 v22, v16, 0.5, v8 op_sel_hi:[1,0,1] neg_lo:[1,0,0] neg_hi:[1,0,0]
	v_pk_add_f16 v8, v8, v10
	v_pk_add_f16 v10, v10, v19 neg_lo:[0,1] neg_hi:[0,1]
	v_pk_add_f16 v7, v7, v18
	v_bfi_b32 v15, s6, v15, v21
	v_bfi_b32 v14, s6, v14, v23
	v_pk_mul_f16 v18, v9, s0 op_sel_hi:[1,0]
	v_pk_add_f16 v16, v8, v19
	v_pk_add_f16 v8, v20, v18 op_sel:[0,1] op_sel_hi:[1,0]
	v_pk_mul_f16 v10, v10, s0 op_sel_hi:[1,0]
	v_bfi_b32 v19, s6, v27, v26
	ds_write2_b32 v11, v15, v14 offset0:2 offset1:164
	v_bfi_b32 v12, s6, v12, v17
	v_add_u32_e32 v14, 0x400, v11
	v_pk_add_f16 v15, v20, v18 op_sel:[0,1] op_sel_hi:[1,0] neg_lo:[0,1] neg_hi:[0,1]
	v_pk_add_f16 v9, v10, v22 op_sel:[1,0] op_sel_hi:[0,1]
	v_pk_add_f16 v10, v22, v10 op_sel:[0,1] op_sel_hi:[1,0] neg_lo:[0,1] neg_hi:[0,1]
	ds_write2_b32 v14, v19, v12 offset0:70 offset1:232
	ds_write_b32 v11, v7 offset:2592
	v_add_u32_e32 v12, 0xa24, v11
	v_bfi_b32 v14, s6, v15, v8
	v_bfi_b32 v17, s6, v8, v15
	v_cmp_gt_u32_e64 s[0:1], 18, v3
	ds_write2_b32 v12, v17, v14 offset1:1
	s_and_saveexec_b64 s[2:3], s[0:1]
	s_cbranch_execz .LBB0_21
; %bb.20:
	ds_write_b32 v11, v16 offset:3240
	v_add_u32_e32 v11, 0xcac, v11
	v_bfi_b32 v12, s6, v10, v9
	v_bfi_b32 v14, s6, v9, v10
	ds_write2_b32 v11, v14, v12 offset1:1
.LBB0_21:
	s_or_b64 exec, exec, s[2:3]
	s_waitcnt lgkmcnt(0)
	; wave barrier
	s_waitcnt lgkmcnt(0)
	ds_read2_b32 v[11:12], v0 offset1:54
	ds_read2_b32 v[17:18], v0 offset0:144 offset1:198
	ds_read2_b32 v[19:20], v13 offset0:32 offset1:86
	;; [unrolled: 1-line block ×4, first 2 shown]
	v_add_u32_e32 v4, 0xa00, v0
	ds_read2_b32 v[13:14], v4 offset0:80 offset1:134
	v_lshrrev_b32_e32 v26, 16, v8
	v_cmp_gt_u32_e64 s[2:3], 36, v3
	v_lshrrev_b32_e32 v27, 16, v10
	v_lshrrev_b32_e32 v30, 16, v15
	s_and_saveexec_b64 s[6:7], s[2:3]
	s_cbranch_execz .LBB0_23
; %bb.22:
	v_add_u32_e32 v15, 0x600, v0
	ds_read2_b32 v[7:8], v0 offset0:108 offset1:252
	ds_read2_b32 v[9:10], v4 offset0:44 offset1:188
	;; [unrolled: 1-line block ×3, first 2 shown]
	s_mov_b32 s8, 0xffff
	s_waitcnt lgkmcnt(2)
	v_lshrrev_b32_e32 v30, 16, v8
	s_waitcnt lgkmcnt(1)
	v_lshrrev_b32_e32 v27, 16, v9
	;; [unrolled: 2-line block ×3, first 2 shown]
	v_bfi_b32 v9, s8, v9, v10
.LBB0_23:
	s_or_b64 exec, exec, s[6:7]
	s_movk_i32 s6, 0xab
	v_mul_lo_u16_sdwa v4, v3, s6 dst_sel:DWORD dst_unused:UNUSED_PAD src0_sel:BYTE_0 src1_sel:DWORD
	v_lshrrev_b16_e32 v43, 9, v4
	v_mul_lo_u16_e32 v4, 3, v43
	v_sub_u16_e32 v44, v3, v4
	v_mov_b32_e32 v39, 5
	v_mul_u32_u24_sdwa v4, v44, v39 dst_sel:DWORD dst_unused:UNUSED_PAD src0_sel:BYTE_0 src1_sel:DWORD
	v_lshlrev_b32_e32 v45, 2, v4
	v_add_u32_e32 v4, 54, v3
	v_mul_lo_u16_sdwa v25, v4, s6 dst_sel:DWORD dst_unused:UNUSED_PAD src0_sel:BYTE_0 src1_sel:DWORD
	v_lshrrev_b16_e32 v46, 9, v25
	v_mul_lo_u16_e32 v25, 3, v46
	global_load_dwordx4 v[31:34], v45, s[12:13]
	v_sub_u16_e32 v47, v4, v25
	v_mul_u32_u24_sdwa v25, v47, v39 dst_sel:DWORD dst_unused:UNUSED_PAD src0_sel:BYTE_0 src1_sel:DWORD
	v_lshlrev_b32_e32 v48, 2, v25
	global_load_dwordx4 v[35:38], v48, s[12:13]
	v_add_u32_e32 v25, 0x6c, v3
	v_mul_lo_u16_sdwa v28, v25, s6 dst_sel:DWORD dst_unused:UNUSED_PAD src0_sel:BYTE_0 src1_sel:DWORD
	v_lshrrev_b16_e32 v28, 9, v28
	v_mul_lo_u16_e32 v29, 3, v28
	v_sub_u16_e32 v29, v25, v29
	v_mul_u32_u24_sdwa v39, v29, v39 dst_sel:DWORD dst_unused:UNUSED_PAD src0_sel:BYTE_0 src1_sel:DWORD
	v_lshlrev_b32_e32 v49, 2, v39
	global_load_dwordx4 v[39:42], v49, s[12:13]
	global_load_dword v50, v45, s[12:13] offset:16
	global_load_dword v51, v48, s[12:13] offset:16
	;; [unrolled: 1-line block ×3, first 2 shown]
	s_waitcnt lgkmcnt(4)
	v_lshrrev_b32_e32 v45, 16, v17
	s_waitcnt lgkmcnt(3)
	v_lshrrev_b32_e32 v48, 16, v19
	;; [unrolled: 2-line block ×4, first 2 shown]
	v_lshrrev_b32_e32 v54, 16, v18
	v_lshrrev_b32_e32 v55, 16, v20
	;; [unrolled: 1-line block ×5, first 2 shown]
	s_mov_b32 s6, 0xbaee
	s_movk_i32 s7, 0x3aee
	v_mul_u32_u24_e32 v43, 0x48, v43
	s_waitcnt lgkmcnt(0)
	; wave barrier
	s_waitcnt vmcnt(5) lgkmcnt(0)
	v_mul_f16_sdwa v59, v31, v17 dst_sel:DWORD dst_unused:UNUSED_PAD src0_sel:WORD_1 src1_sel:DWORD
	v_mul_f16_sdwa v60, v31, v45 dst_sel:DWORD dst_unused:UNUSED_PAD src0_sel:WORD_1 src1_sel:DWORD
	;; [unrolled: 1-line block ×3, first 2 shown]
	v_fma_f16 v45, v31, v45, v59
	v_mul_f16_sdwa v59, v33, v21 dst_sel:DWORD dst_unused:UNUSED_PAD src0_sel:WORD_1 src1_sel:DWORD
	v_mul_f16_sdwa v62, v32, v48 dst_sel:DWORD dst_unused:UNUSED_PAD src0_sel:WORD_1 src1_sel:DWORD
	v_fma_f16 v48, v32, v48, v61
	v_mul_f16_sdwa v61, v33, v49 dst_sel:DWORD dst_unused:UNUSED_PAD src0_sel:WORD_1 src1_sel:DWORD
	v_fma_f16 v49, v33, v49, v59
	;; [unrolled: 2-line block ×3, first 2 shown]
	v_mul_f16_sdwa v53, v34, v53 dst_sel:DWORD dst_unused:UNUSED_PAD src0_sel:WORD_1 src1_sel:DWORD
	v_fma_f16 v31, v31, v17, -v60
	s_waitcnt vmcnt(4)
	v_mul_f16_sdwa v17, v35, v54 dst_sel:DWORD dst_unused:UNUSED_PAD src0_sel:WORD_1 src1_sel:DWORD
	v_fma_f16 v32, v32, v19, -v62
	v_fma_f16 v33, v33, v21, -v61
	;; [unrolled: 1-line block ×3, first 2 shown]
	v_mul_f16_sdwa v19, v35, v18 dst_sel:DWORD dst_unused:UNUSED_PAD src0_sel:WORD_1 src1_sel:DWORD
	v_mul_f16_sdwa v21, v36, v55 dst_sel:DWORD dst_unused:UNUSED_PAD src0_sel:WORD_1 src1_sel:DWORD
	v_fma_f16 v53, v35, v18, -v17
	v_mul_f16_sdwa v18, v37, v56 dst_sel:DWORD dst_unused:UNUSED_PAD src0_sel:WORD_1 src1_sel:DWORD
	v_mul_f16_sdwa v17, v36, v20 dst_sel:DWORD dst_unused:UNUSED_PAD src0_sel:WORD_1 src1_sel:DWORD
	v_fma_f16 v60, v36, v20, -v21
	v_mul_f16_sdwa v20, v37, v22 dst_sel:DWORD dst_unused:UNUSED_PAD src0_sel:WORD_1 src1_sel:DWORD
	v_mul_f16_sdwa v21, v57, v38 dst_sel:DWORD dst_unused:UNUSED_PAD src0_sel:DWORD src1_sel:WORD_1
	v_fma_f16 v22, v37, v22, -v18
	v_mul_f16_sdwa v18, v24, v38 dst_sel:DWORD dst_unused:UNUSED_PAD src0_sel:DWORD src1_sel:WORD_1
	s_waitcnt vmcnt(3)
	v_mul_f16_sdwa v61, v26, v40 dst_sel:DWORD dst_unused:UNUSED_PAD src0_sel:DWORD src1_sel:WORD_1
	v_fma_f16 v24, v24, v38, -v21
	v_mul_f16_sdwa v21, v58, v41 dst_sel:DWORD dst_unused:UNUSED_PAD src0_sel:DWORD src1_sel:WORD_1
	v_fma_f16 v35, v35, v54, v19
	v_mul_f16_sdwa v19, v16, v41 dst_sel:DWORD dst_unused:UNUSED_PAD src0_sel:DWORD src1_sel:WORD_1
	v_fma_f16 v36, v36, v55, v17
	v_mul_f16_sdwa v54, v8, v39 dst_sel:DWORD dst_unused:UNUSED_PAD src0_sel:DWORD src1_sel:WORD_1
	v_mul_f16_sdwa v55, v30, v39 dst_sel:DWORD dst_unused:UNUSED_PAD src0_sel:DWORD src1_sel:WORD_1
	v_fma_f16 v38, v57, v38, v18
	v_mul_f16_sdwa v18, v9, v42 dst_sel:DWORD dst_unused:UNUSED_PAD src0_sel:DWORD src1_sel:WORD_1
	v_lshrrev_b32_e32 v34, 16, v13
	v_mul_f16_sdwa v62, v15, v40 dst_sel:DWORD dst_unused:UNUSED_PAD src0_sel:DWORD src1_sel:WORD_1
	v_fma_f16 v37, v37, v56, v20
	v_mul_f16_sdwa v56, v27, v42 dst_sel:DWORD dst_unused:UNUSED_PAD src0_sel:DWORD src1_sel:WORD_1
	v_fma_f16 v17, v15, v40, -v61
	v_fma_f16 v15, v16, v41, -v21
	v_fma_f16 v16, v58, v41, v19
	v_fma_f16 v19, v30, v39, v54
	;; [unrolled: 1-line block ×3, first 2 shown]
	v_fma_f16 v8, v8, v39, -v55
	v_lshrrev_b32_e32 v27, 16, v11
	v_add_f16_e32 v39, v48, v59
	s_waitcnt vmcnt(2)
	v_mul_f16_sdwa v57, v50, v13 dst_sel:DWORD dst_unused:UNUSED_PAD src0_sel:WORD_1 src1_sel:DWORD
	v_mul_f16_sdwa v63, v50, v34 dst_sel:DWORD dst_unused:UNUSED_PAD src0_sel:WORD_1 src1_sel:DWORD
	v_add_f16_e32 v30, v27, v48
	v_fma_f16 v27, v39, -0.5, v27
	v_add_f16_e32 v39, v11, v32
	v_fma_f16 v20, v26, v40, v62
	v_fma_f16 v26, v50, v34, v57
	v_fma_f16 v13, v50, v13, -v63
	v_add_f16_e32 v39, v39, v23
	v_add_f16_e32 v40, v32, v23
	v_sub_f16_e32 v23, v32, v23
	v_add_f16_e32 v32, v45, v49
	v_fma_f16 v18, v9, v42, -v56
	v_add_f16_e32 v32, v32, v26
	v_sub_f16_e32 v41, v49, v26
	v_add_f16_e32 v26, v49, v26
	v_add_f16_e32 v42, v33, v13
	v_fma_f16 v26, v26, -0.5, v45
	v_fma_f16 v42, v42, -0.5, v31
	v_add_f16_e32 v31, v31, v33
	v_sub_f16_e32 v33, v33, v13
	v_fma_f16 v45, v33, s6, v26
	v_sub_f16_e32 v34, v48, v59
	v_add_f16_e32 v31, v31, v13
	v_fma_f16 v13, v41, s7, v42
	v_mul_f16_e32 v48, 0x3aee, v45
	v_fma_f16 v48, v13, 0.5, v48
	v_mul_f16_e32 v13, 0xbaee, v13
	v_fma_f16 v45, v45, 0.5, v13
	v_mov_b32_e32 v13, 2
	v_add_f16_e32 v30, v30, v59
	v_lshlrev_b32_sdwa v44, v13, v44 dst_sel:DWORD dst_unused:UNUSED_PAD src0_sel:DWORD src1_sel:BYTE_0
	v_add3_u32 v43, 0, v43, v44
	v_add_f16_e32 v44, v39, v31
	v_add_f16_e32 v49, v30, v32
	v_pack_b32_f16 v44, v44, v49
	v_fma_f16 v49, v23, s6, v27
	v_fma_f16 v23, v23, s7, v27
	;; [unrolled: 1-line block ×4, first 2 shown]
	v_mul_f16_e32 v33, -0.5, v27
	v_fma_f16 v11, v40, -0.5, v11
	v_fma_f16 v33, v26, s7, v33
	v_mul_f16_e32 v26, -0.5, v26
	v_fma_f16 v40, v34, s7, v11
	v_fma_f16 v11, v34, s6, v11
	;; [unrolled: 1-line block ×3, first 2 shown]
	v_sub_f16_e32 v27, v39, v31
	v_sub_f16_e32 v30, v30, v32
	v_add_f16_e32 v31, v11, v33
	v_add_f16_e32 v32, v23, v26
	v_pack_b32_f16 v31, v31, v32
	v_pack_b32_f16 v27, v27, v30
	ds_write2_b32 v43, v31, v27 offset0:6 offset1:9
	v_sub_f16_e32 v27, v40, v48
	v_sub_f16_e32 v11, v11, v33
	;; [unrolled: 1-line block ×4, first 2 shown]
	v_pack_b32_f16 v26, v27, v30
	v_pack_b32_f16 v11, v11, v23
	ds_write2_b32 v43, v26, v11 offset0:12 offset1:15
	v_lshrrev_b32_e32 v11, 16, v14
	s_waitcnt vmcnt(1)
	v_mul_f16_sdwa v23, v11, v51 dst_sel:DWORD dst_unused:UNUSED_PAD src0_sel:DWORD src1_sel:WORD_1
	v_fma_f16 v23, v14, v51, -v23
	v_mul_f16_sdwa v14, v14, v51 dst_sel:DWORD dst_unused:UNUSED_PAD src0_sel:DWORD src1_sel:WORD_1
	v_fma_f16 v11, v11, v51, v14
	v_lshrrev_b32_e32 v14, 16, v9
	v_lshrrev_b32_e32 v26, 16, v12
	v_add_f16_e32 v31, v36, v38
	s_waitcnt vmcnt(0)
	v_mul_f16_sdwa v9, v14, v52 dst_sel:DWORD dst_unused:UNUSED_PAD src0_sel:DWORD src1_sel:WORD_1
	v_add_f16_e32 v27, v26, v36
	v_fma_f16 v26, v31, -0.5, v26
	v_add_f16_e32 v31, v35, v37
	v_fma_f16 v9, v10, v52, -v9
	v_mul_f16_sdwa v10, v10, v52 dst_sel:DWORD dst_unused:UNUSED_PAD src0_sel:DWORD src1_sel:WORD_1
	v_add_f16_e32 v31, v31, v11
	v_sub_f16_e32 v32, v37, v11
	v_add_f16_e32 v11, v37, v11
	v_fma_f16 v10, v14, v52, v10
	v_add_f16_e32 v14, v60, v24
	v_fma_f16 v11, v11, -0.5, v35
	v_add_f16_e32 v33, v22, v23
	v_add_f16_e32 v34, v53, v22
	v_sub_f16_e32 v22, v22, v23
	v_fma_f16 v14, v14, -0.5, v12
	v_add_f16_e32 v12, v12, v60
	v_fma_f16 v33, v33, -0.5, v53
	v_fma_f16 v35, v22, s6, v11
	v_sub_f16_e32 v30, v36, v38
	v_add_f16_e32 v12, v12, v24
	v_sub_f16_e32 v24, v60, v24
	v_add_f16_e32 v34, v34, v23
	v_fma_f16 v23, v32, s7, v33
	v_mul_f16_e32 v36, 0x3aee, v35
	v_fma_f16 v36, v23, 0.5, v36
	v_mul_f16_e32 v23, 0xbaee, v23
	v_fma_f16 v39, v24, s6, v26
	v_fma_f16 v24, v24, s7, v26
	;; [unrolled: 1-line block ×3, first 2 shown]
	v_add_f16_e32 v27, v27, v38
	v_fma_f16 v23, v35, 0.5, v23
	v_mul_u32_u24_e32 v35, 0x48, v46
	v_lshlrev_b32_sdwa v37, v13, v47 dst_sel:DWORD dst_unused:UNUSED_PAD src0_sel:DWORD src1_sel:BYTE_0
	v_fma_f16 v11, v22, s7, v11
	v_mul_f16_e32 v22, -0.5, v26
	v_add3_u32 v35, 0, v35, v37
	v_add_f16_e32 v37, v12, v34
	v_add_f16_e32 v38, v27, v31
	v_fma_f16 v22, v11, s7, v22
	v_mul_f16_e32 v11, -0.5, v11
	v_pack_b32_f16 v37, v37, v38
	v_fma_f16 v38, v30, s7, v14
	v_fma_f16 v14, v30, s6, v14
	;; [unrolled: 1-line block ×3, first 2 shown]
	v_add_f16_e32 v50, v40, v48
	v_add_f16_e32 v54, v49, v45
	v_sub_f16_e32 v26, v12, v34
	v_add_f16_e32 v30, v14, v22
	v_sub_f16_e32 v33, v14, v22
	v_sub_f16_e32 v14, v27, v31
	v_add_f16_e32 v22, v24, v11
	v_pack_b32_f16 v50, v50, v54
	v_pack_b32_f16 v22, v30, v22
	;; [unrolled: 1-line block ×3, first 2 shown]
	ds_write2_b32 v43, v44, v50 offset1:3
	ds_write2_b32 v35, v22, v14 offset0:6 offset1:9
	v_add_f16_e32 v14, v20, v21
	v_lshrrev_b32_e32 v30, 16, v7
	v_add_f16_e32 v41, v39, v23
	v_sub_f16_e32 v32, v38, v36
	v_sub_f16_e32 v23, v39, v23
	;; [unrolled: 1-line block ×3, first 2 shown]
	v_fma_f16 v22, v14, -0.5, v30
	v_sub_f16_e32 v26, v17, v18
	v_fma_f16 v14, v26, s6, v22
	v_fma_f16 v22, v26, s7, v22
	v_pack_b32_f16 v23, v32, v23
	v_pack_b32_f16 v24, v33, v24
	v_add_f16_e32 v26, v15, v9
	v_add_f16_e32 v11, v17, v18
	v_fma_f16 v26, v26, -0.5, v8
	ds_write2_b32 v35, v23, v24 offset0:12 offset1:15
	v_sub_f16_e32 v23, v16, v10
	v_fma_f16 v12, v11, -0.5, v7
	v_sub_f16_e32 v27, v20, v21
	v_fma_f16 v24, v23, s7, v26
	v_fma_f16 v23, v23, s6, v26
	v_add_f16_e32 v26, v16, v10
	v_fma_f16 v11, v27, s7, v12
	v_fma_f16 v12, v27, s6, v12
	v_fma_f16 v26, v26, -0.5, v19
	v_sub_f16_e32 v27, v15, v9
	v_fma_f16 v32, v27, s6, v26
	v_fma_f16 v26, v27, s7, v26
	v_mul_f16_e32 v27, 0x3aee, v32
	v_fma_f16 v31, v24, 0.5, v27
	v_mul_f16_e32 v24, 0xbaee, v24
	v_fma_f16 v33, v32, 0.5, v24
	v_mul_f16_e32 v24, -0.5, v23
	v_fma_f16 v32, v26, s7, v24
	v_mul_f16_e32 v24, -0.5, v26
	v_add_f16_e32 v40, v38, v36
	v_fma_f16 v34, v23, s6, v24
	v_pack_b32_f16 v40, v40, v41
	v_sub_f16_e32 v23, v11, v31
	v_sub_f16_e32 v24, v12, v32
	;; [unrolled: 1-line block ×4, first 2 shown]
	ds_write2_b32 v35, v37, v40 offset1:3
	s_and_saveexec_b64 s[6:7], s[2:3]
	s_cbranch_execz .LBB0_25
; %bb.24:
	v_add_f16_e32 v20, v30, v20
	v_add_f16_e32 v16, v19, v16
	;; [unrolled: 1-line block ×8, first 2 shown]
	v_sub_f16_e32 v16, v20, v10
	v_sub_f16_e32 v9, v7, v8
	v_add_f16_e32 v14, v14, v33
	v_add_f16_e32 v10, v20, v10
	;; [unrolled: 1-line block ×4, first 2 shown]
	v_mul_u32_u24_e32 v8, 0x48, v28
	v_lshlrev_b32_sdwa v13, v13, v29 dst_sel:DWORD dst_unused:UNUSED_PAD src0_sel:DWORD src1_sel:BYTE_0
	v_add_f16_e32 v15, v22, v34
	v_add_f16_e32 v12, v12, v32
	v_add3_u32 v8, 0, v8, v13
	v_pack_b32_f16 v7, v7, v10
	v_pack_b32_f16 v10, v11, v14
	ds_write2_b32 v8, v7, v10 offset1:3
	v_pack_b32_f16 v7, v12, v15
	v_pack_b32_f16 v9, v9, v16
	s_mov_b32 s2, 0x5040100
	ds_write2_b32 v8, v7, v9 offset0:6 offset1:9
	v_perm_b32 v7, v26, v23, s2
	v_perm_b32 v9, v27, v24, s2
	ds_write2_b32 v8, v7, v9 offset0:12 offset1:15
.LBB0_25:
	s_or_b64 exec, exec, s[6:7]
	v_add_u32_e32 v7, 0xa00, v0
	s_waitcnt lgkmcnt(0)
	; wave barrier
	s_waitcnt lgkmcnt(0)
	ds_read2_b32 v[11:12], v0 offset1:54
	ds_read2_b32 v[13:14], v0 offset0:108 offset1:162
	ds_read2_b32 v[33:34], v7 offset0:116 offset1:170
	v_mov_b32_e32 v7, 57
	v_mul_lo_u16_sdwa v7, v3, v7 dst_sel:DWORD dst_unused:UNUSED_PAD src0_sel:BYTE_0 src1_sel:DWORD
	v_lshrrev_b16_e32 v46, 10, v7
	v_mul_lo_u16_e32 v7, 18, v46
	v_sub_u16_e32 v47, v3, v7
	v_mov_b32_e32 v7, 15
	v_mul_u32_u24_sdwa v7, v47, v7 dst_sel:DWORD dst_unused:UNUSED_PAD src0_sel:BYTE_0 src1_sel:DWORD
	v_lshlrev_b32_e32 v48, 2, v7
	global_load_dwordx4 v[7:10], v48, s[12:13] offset:60
	s_waitcnt lgkmcnt(2)
	v_lshrrev_b32_e32 v49, 16, v12
	v_add_u32_e32 v28, 0x200, v0
	ds_read2_b32 v[15:16], v28 offset0:88 offset1:142
	v_add_u32_e32 v29, 0x400, v0
	ds_read2_b32 v[17:18], v29 offset0:68 offset1:122
	ds_read2_b32 v[19:20], v29 offset0:176 offset1:230
	v_add_u32_e32 v30, 0x800, v0
	s_waitcnt lgkmcnt(2)
	v_lshrrev_b32_e32 v35, 16, v16
	ds_read2_b32 v[21:22], v30 offset0:28 offset1:82
	s_waitcnt lgkmcnt(2)
	v_lshrrev_b32_e32 v36, 16, v17
	v_lshrrev_b32_e32 v37, 16, v18
	s_waitcnt lgkmcnt(1)
	v_lshrrev_b32_e32 v38, 16, v19
	v_lshrrev_b32_e32 v39, 16, v20
	ds_read2_b32 v[31:32], v30 offset0:136 offset1:190
	s_waitcnt lgkmcnt(1)
	v_lshrrev_b32_e32 v40, 16, v21
	v_lshrrev_b32_e32 v41, 16, v22
	;; [unrolled: 1-line block ×4, first 2 shown]
	s_waitcnt lgkmcnt(0)
	v_lshrrev_b32_e32 v42, 16, v31
	v_lshrrev_b32_e32 v43, 16, v32
	s_mov_b32 s2, 0xb9a8
	s_movk_i32 s3, 0x39a8
	s_mov_b32 s6, 0xbb64
	s_movk_i32 s8, 0x361f
	s_mov_b32 s7, 0xb61f
	s_movk_i32 s9, 0x3b64
	s_waitcnt vmcnt(0)
	v_mul_f16_sdwa v50, v7, v49 dst_sel:DWORD dst_unused:UNUSED_PAD src0_sel:WORD_1 src1_sel:DWORD
	v_fma_f16 v50, v7, v12, -v50
	v_mul_f16_sdwa v12, v7, v12 dst_sel:DWORD dst_unused:UNUSED_PAD src0_sel:WORD_1 src1_sel:DWORD
	v_fma_f16 v12, v7, v49, v12
	v_lshrrev_b32_e32 v7, 16, v13
	v_mul_f16_sdwa v49, v8, v7 dst_sel:DWORD dst_unused:UNUSED_PAD src0_sel:WORD_1 src1_sel:DWORD
	v_fma_f16 v49, v8, v13, -v49
	v_mul_f16_sdwa v13, v8, v13 dst_sel:DWORD dst_unused:UNUSED_PAD src0_sel:WORD_1 src1_sel:DWORD
	v_fma_f16 v13, v8, v7, v13
	v_lshrrev_b32_e32 v7, 16, v14
	v_mul_f16_sdwa v8, v9, v7 dst_sel:DWORD dst_unused:UNUSED_PAD src0_sel:WORD_1 src1_sel:DWORD
	v_fma_f16 v51, v9, v14, -v8
	v_mul_f16_sdwa v8, v9, v14 dst_sel:DWORD dst_unused:UNUSED_PAD src0_sel:WORD_1 src1_sel:DWORD
	v_fma_f16 v14, v9, v7, v8
	v_lshrrev_b32_e32 v7, 16, v15
	v_mul_f16_sdwa v8, v10, v7 dst_sel:DWORD dst_unused:UNUSED_PAD src0_sel:WORD_1 src1_sel:DWORD
	v_fma_f16 v52, v10, v15, -v8
	v_mul_f16_sdwa v8, v10, v15 dst_sel:DWORD dst_unused:UNUSED_PAD src0_sel:WORD_1 src1_sel:DWORD
	v_fma_f16 v15, v10, v7, v8
	global_load_dwordx4 v[7:10], v48, s[12:13] offset:76
	s_waitcnt vmcnt(0)
	v_mul_f16_sdwa v53, v35, v7 dst_sel:DWORD dst_unused:UNUSED_PAD src0_sel:DWORD src1_sel:WORD_1
	v_fma_f16 v53, v16, v7, -v53
	v_mul_f16_sdwa v16, v16, v7 dst_sel:DWORD dst_unused:UNUSED_PAD src0_sel:DWORD src1_sel:WORD_1
	v_fma_f16 v16, v35, v7, v16
	v_mul_f16_sdwa v7, v36, v8 dst_sel:DWORD dst_unused:UNUSED_PAD src0_sel:DWORD src1_sel:WORD_1
	v_fma_f16 v35, v17, v8, -v7
	v_mul_f16_sdwa v7, v17, v8 dst_sel:DWORD dst_unused:UNUSED_PAD src0_sel:DWORD src1_sel:WORD_1
	v_fma_f16 v17, v36, v8, v7
	;; [unrolled: 4-line block ×4, first 2 shown]
	global_load_dwordx4 v[7:10], v48, s[12:13] offset:92
	v_sub_f16_e32 v37, v11, v37
	s_waitcnt vmcnt(0)
	v_mul_f16_sdwa v38, v39, v7 dst_sel:DWORD dst_unused:UNUSED_PAD src0_sel:DWORD src1_sel:WORD_1
	v_fma_f16 v38, v20, v7, -v38
	v_mul_f16_sdwa v20, v20, v7 dst_sel:DWORD dst_unused:UNUSED_PAD src0_sel:DWORD src1_sel:WORD_1
	v_fma_f16 v20, v39, v7, v20
	v_mul_f16_sdwa v7, v40, v8 dst_sel:DWORD dst_unused:UNUSED_PAD src0_sel:DWORD src1_sel:WORD_1
	v_fma_f16 v39, v21, v8, -v7
	v_mul_f16_sdwa v7, v21, v8 dst_sel:DWORD dst_unused:UNUSED_PAD src0_sel:DWORD src1_sel:WORD_1
	v_fma_f16 v21, v40, v8, v7
	;; [unrolled: 4-line block ×4, first 2 shown]
	global_load_dwordx3 v[7:9], v48, s[12:13] offset:108
	v_sub_f16_e32 v41, v52, v41
	v_sub_f16_e32 v21, v13, v21
	;; [unrolled: 1-line block ×3, first 2 shown]
	v_fma_f16 v42, v52, 2.0, -v41
	v_sub_f16_e32 v39, v49, v39
	v_fma_f16 v15, v15, 2.0, -v10
	v_fma_f16 v13, v13, 2.0, -v21
	v_sub_f16_e32 v38, v50, v38
	v_sub_f16_e32 v20, v12, v20
	;; [unrolled: 1-line block ×5, first 2 shown]
	v_fma_f16 v48, v51, 2.0, -v40
	v_fma_f16 v12, v12, 2.0, -v20
	;; [unrolled: 1-line block ×3, first 2 shown]
	s_waitcnt lgkmcnt(0)
	; wave barrier
	s_waitcnt vmcnt(0)
	v_mul_f16_sdwa v31, v43, v7 dst_sel:DWORD dst_unused:UNUSED_PAD src0_sel:DWORD src1_sel:WORD_1
	v_fma_f16 v31, v32, v7, -v31
	v_mul_f16_sdwa v32, v32, v7 dst_sel:DWORD dst_unused:UNUSED_PAD src0_sel:DWORD src1_sel:WORD_1
	v_fma_f16 v7, v43, v7, v32
	v_mul_f16_sdwa v32, v44, v8 dst_sel:DWORD dst_unused:UNUSED_PAD src0_sel:DWORD src1_sel:WORD_1
	v_fma_f16 v32, v33, v8, -v32
	v_mul_f16_sdwa v33, v33, v8 dst_sel:DWORD dst_unused:UNUSED_PAD src0_sel:DWORD src1_sel:WORD_1
	v_fma_f16 v8, v44, v8, v33
	;; [unrolled: 4-line block ×3, first 2 shown]
	v_lshrrev_b32_e32 v34, 16, v11
	v_sub_f16_e32 v19, v34, v19
	v_sub_f16_e32 v32, v35, v32
	;; [unrolled: 1-line block ×3, first 2 shown]
	v_fma_f16 v35, v35, 2.0, -v32
	v_add_f16_e32 v41, v19, v41
	v_add_f16_e32 v32, v21, v32
	v_fma_f16 v34, v34, 2.0, -v19
	v_fma_f16 v17, v17, 2.0, -v8
	v_sub_f16_e32 v31, v53, v31
	v_sub_f16_e32 v33, v36, v33
	v_fma_f16 v19, v19, 2.0, -v41
	v_sub_f16_e32 v8, v39, v8
	v_fma_f16 v21, v21, 2.0, -v32
	v_fma_f16 v11, v11, 2.0, -v37
	v_fma_f16 v43, v49, 2.0, -v39
	v_fma_f16 v44, v50, 2.0, -v38
	v_sub_f16_e32 v7, v16, v7
	v_fma_f16 v45, v53, 2.0, -v31
	v_sub_f16_e32 v9, v18, v9
	v_fma_f16 v36, v36, 2.0, -v33
	v_fma_f16 v37, v37, 2.0, -v10
	;; [unrolled: 1-line block ×3, first 2 shown]
	v_add_f16_e32 v31, v20, v31
	v_add_f16_e32 v33, v22, v33
	v_fma_f16 v50, v21, s2, v19
	v_fma_f16 v16, v16, 2.0, -v7
	v_fma_f16 v18, v18, 2.0, -v9
	v_sub_f16_e32 v45, v44, v45
	v_sub_f16_e32 v7, v38, v7
	v_fma_f16 v20, v20, 2.0, -v31
	v_sub_f16_e32 v36, v48, v36
	v_sub_f16_e32 v9, v40, v9
	v_fma_f16 v22, v22, 2.0, -v33
	v_fma_f16 v49, v39, s2, v37
	v_fma_f16 v39, v39, s3, v50
	v_fma_f16 v50, v32, s3, v41
	v_fma_f16 v44, v44, 2.0, -v45
	v_fma_f16 v38, v38, 2.0, -v7
	;; [unrolled: 1-line block ×4, first 2 shown]
	v_fma_f16 v21, v21, s2, v49
	v_fma_f16 v49, v8, s3, v10
	;; [unrolled: 1-line block ×4, first 2 shown]
	v_sub_f16_e32 v15, v34, v15
	v_sub_f16_e32 v35, v43, v35
	;; [unrolled: 1-line block ×3, first 2 shown]
	v_fma_f16 v49, v32, s2, v49
	v_fma_f16 v32, v41, 2.0, -v8
	v_sub_f16_e32 v41, v44, v48
	v_fma_f16 v48, v40, s2, v38
	v_fma_f16 v40, v40, s3, v50
	v_sub_f16_e32 v42, v11, v42
	v_sub_f16_e32 v17, v13, v17
	v_fma_f16 v43, v43, 2.0, -v35
	v_sub_f16_e32 v18, v14, v18
	v_fma_f16 v19, v19, 2.0, -v39
	v_add_f16_e32 v35, v15, v35
	v_fma_f16 v22, v22, s2, v48
	v_fma_f16 v20, v20, 2.0, -v40
	v_add_f16_e32 v36, v16, v36
	v_fma_f16 v50, v33, s3, v31
	v_fma_f16 v34, v34, 2.0, -v15
	v_fma_f16 v13, v13, 2.0, -v17
	;; [unrolled: 1-line block ×5, first 2 shown]
	v_sub_f16_e32 v17, v42, v17
	v_fma_f16 v15, v15, 2.0, -v35
	v_fma_f16 v38, v38, 2.0, -v22
	v_sub_f16_e32 v18, v45, v18
	v_fma_f16 v16, v16, 2.0, -v36
	v_fma_f16 v48, v9, s3, v7
	v_fma_f16 v9, v9, s3, v50
	;; [unrolled: 1-line block ×3, first 2 shown]
	v_fma_f16 v11, v11, 2.0, -v42
	v_fma_f16 v42, v42, 2.0, -v17
	;; [unrolled: 1-line block ×3, first 2 shown]
	v_fma_f16 v33, v33, s2, v48
	v_fma_f16 v31, v31, 2.0, -v9
	v_fma_f16 v48, v38, s6, v37
	v_fma_f16 v38, v38, s8, v50
	;; [unrolled: 1-line block ×3, first 2 shown]
	v_fma_f16 v10, v10, 2.0, -v49
	v_fma_f16 v7, v7, 2.0, -v33
	v_fma_f16 v20, v20, s7, v48
	v_fma_f16 v48, v45, s2, v42
	;; [unrolled: 1-line block ×7, first 2 shown]
	v_fma_f16 v50, v32, 2.0, -v7
	v_fma_f16 v32, v40, s8, v39
	v_sub_f16_e32 v43, v11, v43
	v_sub_f16_e32 v13, v34, v13
	;; [unrolled: 1-line block ×3, first 2 shown]
	v_fma_f16 v48, v31, s6, v48
	v_fma_f16 v31, v22, s8, v21
	;; [unrolled: 1-line block ×4, first 2 shown]
	v_fma_f16 v11, v11, 2.0, -v43
	v_fma_f16 v34, v34, 2.0, -v13
	;; [unrolled: 1-line block ×4, first 2 shown]
	v_fma_f16 v40, v40, s6, v31
	v_fma_f16 v31, v18, s3, v17
	;; [unrolled: 1-line block ×4, first 2 shown]
	v_sub_f16_e32 v44, v11, v44
	v_sub_f16_e32 v12, v34, v12
	v_fma_f16 v36, v36, s2, v31
	v_fma_f16 v31, v33, s9, v49
	;; [unrolled: 1-line block ×3, first 2 shown]
	v_mul_u32_u24_e32 v33, 0x120, v46
	v_fma_f16 v11, v11, 2.0, -v44
	v_fma_f16 v34, v34, 2.0, -v12
	v_fma_f16 v37, v37, 2.0, -v20
	v_fma_f16 v19, v19, 2.0, -v38
	v_or_b32_sdwa v33, v33, v47 dst_sel:DWORD dst_unused:UNUSED_PAD src0_sel:DWORD src1_sel:BYTE_0
	v_fma_f16 v42, v42, 2.0, -v16
	v_fma_f16 v15, v15, 2.0, -v45
	;; [unrolled: 1-line block ×3, first 2 shown]
	v_sub_f16_e32 v14, v43, v14
	v_add_f16_e32 v41, v13, v41
	v_lshl_add_u32 v33, v33, 2, 0
	v_pack_b32_f16 v11, v11, v34
	v_pack_b32_f16 v19, v37, v19
	v_fma_f16 v43, v43, 2.0, -v14
	v_fma_f16 v13, v13, 2.0, -v41
	v_fma_f16 v21, v21, 2.0, -v40
	v_fma_f16 v39, v39, 2.0, -v22
	v_fma_f16 v31, v9, s7, v31
	ds_write2_b32 v33, v11, v19 offset1:18
	v_pack_b32_f16 v11, v42, v15
	v_pack_b32_f16 v10, v10, v50
	v_fma_f16 v17, v17, 2.0, -v36
	v_fma_f16 v35, v35, 2.0, -v18
	;; [unrolled: 1-line block ×4, first 2 shown]
	ds_write2_b32 v33, v11, v10 offset0:36 offset1:54
	v_pack_b32_f16 v10, v43, v13
	v_pack_b32_f16 v11, v21, v39
	ds_write2_b32 v33, v10, v11 offset0:72 offset1:90
	v_pack_b32_f16 v10, v17, v35
	v_pack_b32_f16 v8, v9, v8
	;; [unrolled: 3-line block ×6, first 2 shown]
	v_add_u32_e32 v9, 0x200, v33
	ds_write2_b32 v9, v7, v8 offset0:124 offset1:142
	s_waitcnt lgkmcnt(0)
	; wave barrier
	s_waitcnt lgkmcnt(0)
	ds_read2_b32 v[11:12], v0 offset1:54
	ds_read2_b32 v[7:8], v28 offset0:88 offset1:160
	ds_read2_b32 v[21:22], v30 offset0:64 offset1:118
	;; [unrolled: 1-line block ×6, first 2 shown]
	ds_read_b32 v33, v0 offset:3168
	s_and_saveexec_b64 s[2:3], s[0:1]
	s_cbranch_execz .LBB0_27
; %bb.26:
	ds_read_b32 v31, v0 offset:1080
	ds_read_b32 v23, v0 offset:2232
	;; [unrolled: 1-line block ×3, first 2 shown]
	s_waitcnt lgkmcnt(2)
	v_lshrrev_b32_e32 v32, 16, v31
	s_waitcnt lgkmcnt(1)
	v_lshrrev_b32_e32 v26, 16, v23
	;; [unrolled: 2-line block ×3, first 2 shown]
.LBB0_27:
	s_or_b64 exec, exec, s[2:3]
	v_lshlrev_b32_e32 v13, 1, v3
	v_mov_b32_e32 v14, 0
	v_lshlrev_b64 v[34:35], 2, v[13:14]
	v_mov_b32_e32 v51, s13
	v_add_co_u32_e64 v34, s[2:3], s12, v34
	v_addc_co_u32_e64 v35, s[2:3], v51, v35, s[2:3]
	global_load_dwordx2 v[34:35], v[34:35], off offset:1140
	s_waitcnt lgkmcnt(6)
	v_lshrrev_b32_e32 v50, 16, v8
	s_waitcnt lgkmcnt(5)
	v_lshrrev_b32_e32 v49, 16, v21
	;; [unrolled: 2-line block ×3, first 2 shown]
	v_lshrrev_b32_e32 v47, 16, v22
	v_lshrrev_b32_e32 v46, 16, v20
	s_waitcnt lgkmcnt(2)
	v_lshrrev_b32_e32 v45, 16, v17
	s_waitcnt lgkmcnt(1)
	v_lshrrev_b32_e32 v44, 16, v15
	v_lshrrev_b32_e32 v40, 16, v18
	;; [unrolled: 1-line block ×3, first 2 shown]
	s_waitcnt lgkmcnt(0)
	v_lshrrev_b32_e32 v43, 16, v33
	v_lshrrev_b32_e32 v36, 16, v11
	s_movk_i32 s6, 0x3aee
	s_mov_b32 s7, 0xbaee
	v_lshrrev_b32_e32 v37, 16, v12
	v_lshrrev_b32_e32 v38, 16, v9
	;; [unrolled: 1-line block ×4, first 2 shown]
	s_waitcnt vmcnt(0)
	v_mul_f16_sdwa v52, v34, v50 dst_sel:DWORD dst_unused:UNUSED_PAD src0_sel:WORD_1 src1_sel:DWORD
	v_fma_f16 v52, v34, v8, -v52
	v_mul_f16_sdwa v8, v34, v8 dst_sel:DWORD dst_unused:UNUSED_PAD src0_sel:WORD_1 src1_sel:DWORD
	v_fma_f16 v8, v34, v50, v8
	v_mul_f16_sdwa v34, v35, v49 dst_sel:DWORD dst_unused:UNUSED_PAD src0_sel:WORD_1 src1_sel:DWORD
	v_fma_f16 v50, v35, v21, -v34
	v_mul_f16_sdwa v21, v35, v21 dst_sel:DWORD dst_unused:UNUSED_PAD src0_sel:WORD_1 src1_sel:DWORD
	v_fma_f16 v49, v35, v49, v21
	v_lshlrev_b32_e32 v34, 1, v4
	v_mov_b32_e32 v35, v14
	v_lshlrev_b64 v[34:35], 2, v[34:35]
	v_lshlrev_b32_e32 v21, 1, v25
	v_add_co_u32_e64 v34, s[2:3], s12, v34
	v_addc_co_u32_e64 v35, s[2:3], v51, v35, s[2:3]
	global_load_dwordx2 v[34:35], v[34:35], off offset:1140
	s_waitcnt vmcnt(0)
	v_mul_f16_sdwa v4, v34, v48 dst_sel:DWORD dst_unused:UNUSED_PAD src0_sel:WORD_1 src1_sel:DWORD
	v_fma_f16 v4, v34, v19, -v4
	v_mul_f16_sdwa v19, v34, v19 dst_sel:DWORD dst_unused:UNUSED_PAD src0_sel:WORD_1 src1_sel:DWORD
	v_fma_f16 v34, v34, v48, v19
	v_mul_f16_sdwa v19, v35, v47 dst_sel:DWORD dst_unused:UNUSED_PAD src0_sel:WORD_1 src1_sel:DWORD
	v_fma_f16 v48, v35, v22, -v19
	v_mul_f16_sdwa v19, v35, v22 dst_sel:DWORD dst_unused:UNUSED_PAD src0_sel:WORD_1 src1_sel:DWORD
	v_mov_b32_e32 v22, v14
	v_lshlrev_b64 v[21:22], 2, v[21:22]
	v_fma_f16 v35, v35, v47, v19
	v_add_co_u32_e64 v21, s[2:3], s12, v21
	v_addc_co_u32_e64 v22, s[2:3], v51, v22, s[2:3]
	global_load_dwordx2 v[21:22], v[21:22], off offset:1140
	s_waitcnt vmcnt(0)
	v_mul_f16_sdwa v19, v21, v46 dst_sel:DWORD dst_unused:UNUSED_PAD src0_sel:WORD_1 src1_sel:DWORD
	v_fma_f16 v25, v21, v20, -v19
	v_mul_f16_sdwa v19, v21, v20 dst_sel:DWORD dst_unused:UNUSED_PAD src0_sel:WORD_1 src1_sel:DWORD
	v_fma_f16 v21, v21, v46, v19
	v_mul_f16_sdwa v19, v22, v45 dst_sel:DWORD dst_unused:UNUSED_PAD src0_sel:WORD_1 src1_sel:DWORD
	v_fma_f16 v46, v22, v17, -v19
	v_add_u32_e32 v19, 0x144, v13
	v_mov_b32_e32 v20, v14
	v_lshlrev_b64 v[19:20], 2, v[19:20]
	v_mul_f16_sdwa v17, v22, v17 dst_sel:DWORD dst_unused:UNUSED_PAD src0_sel:WORD_1 src1_sel:DWORD
	v_add_co_u32_e64 v19, s[2:3], s12, v19
	v_addc_co_u32_e64 v20, s[2:3], v51, v20, s[2:3]
	global_load_dwordx2 v[19:20], v[19:20], off offset:1140
	v_fma_f16 v22, v22, v45, v17
	v_add_u32_e32 v13, 0x1b0, v13
	s_waitcnt vmcnt(0)
	v_mul_f16_sdwa v17, v19, v44 dst_sel:DWORD dst_unused:UNUSED_PAD src0_sel:WORD_1 src1_sel:DWORD
	v_fma_f16 v45, v19, v15, -v17
	v_mul_f16_sdwa v15, v19, v15 dst_sel:DWORD dst_unused:UNUSED_PAD src0_sel:WORD_1 src1_sel:DWORD
	v_mul_f16_sdwa v17, v40, v20 dst_sel:DWORD dst_unused:UNUSED_PAD src0_sel:DWORD src1_sel:WORD_1
	v_fma_f16 v15, v19, v44, v15
	v_fma_f16 v19, v18, v20, -v17
	v_mul_f16_sdwa v17, v18, v20 dst_sel:DWORD dst_unused:UNUSED_PAD src0_sel:DWORD src1_sel:WORD_1
	v_fma_f16 v20, v40, v20, v17
	v_lshlrev_b64 v[17:18], 2, v[13:14]
	v_add_f16_e32 v40, v52, v50
	v_add_co_u32_e64 v17, s[2:3], s12, v17
	v_addc_co_u32_e64 v18, s[2:3], v51, v18, s[2:3]
	global_load_dwordx2 v[17:18], v[17:18], off offset:1140
	v_add_f16_e32 v44, v4, v48
	s_waitcnt lgkmcnt(0)
	; wave barrier
	s_waitcnt vmcnt(0)
	v_mul_f16_sdwa v13, v42, v17 dst_sel:DWORD dst_unused:UNUSED_PAD src0_sel:DWORD src1_sel:WORD_1
	v_fma_f16 v13, v16, v17, -v13
	v_mul_f16_sdwa v16, v16, v17 dst_sel:DWORD dst_unused:UNUSED_PAD src0_sel:DWORD src1_sel:WORD_1
	v_fma_f16 v16, v42, v17, v16
	v_mul_f16_sdwa v17, v43, v18 dst_sel:DWORD dst_unused:UNUSED_PAD src0_sel:DWORD src1_sel:WORD_1
	v_fma_f16 v17, v33, v18, -v17
	v_mul_f16_sdwa v33, v33, v18 dst_sel:DWORD dst_unused:UNUSED_PAD src0_sel:DWORD src1_sel:WORD_1
	v_fma_f16 v18, v43, v18, v33
	v_add_f16_e32 v33, v11, v52
	v_fma_f16 v11, v40, -0.5, v11
	v_sub_f16_e32 v40, v8, v49
	v_fma_f16 v42, v40, s6, v11
	v_fma_f16 v11, v40, s7, v11
	v_add_f16_e32 v40, v36, v8
	v_add_f16_e32 v8, v8, v49
	v_fma_f16 v8, v8, -0.5, v36
	v_sub_f16_e32 v36, v52, v50
	v_fma_f16 v43, v36, s7, v8
	v_fma_f16 v8, v36, s6, v8
	v_add_f16_e32 v36, v12, v4
	v_fma_f16 v12, v44, -0.5, v12
	v_sub_f16_e32 v44, v34, v35
	v_fma_f16 v47, v44, s6, v12
	v_fma_f16 v12, v44, s7, v12
	v_add_f16_e32 v44, v37, v34
	v_add_f16_e32 v34, v34, v35
	v_fma_f16 v34, v34, -0.5, v37
	v_sub_f16_e32 v4, v4, v48
	v_add_f16_e32 v37, v25, v46
	v_add_f16_e32 v44, v44, v35
	v_fma_f16 v35, v4, s7, v34
	v_fma_f16 v4, v4, s6, v34
	v_add_f16_e32 v34, v9, v25
	v_fma_f16 v9, v37, -0.5, v9
	v_sub_f16_e32 v37, v21, v22
	v_add_f16_e32 v36, v36, v48
	v_fma_f16 v48, v37, s6, v9
	v_fma_f16 v9, v37, s7, v9
	v_add_f16_e32 v37, v38, v21
	v_add_f16_e32 v21, v21, v22
	;; [unrolled: 1-line block ×3, first 2 shown]
	v_fma_f16 v21, v21, -0.5, v38
	v_sub_f16_e32 v22, v25, v46
	v_add_f16_e32 v38, v45, v19
	v_fma_f16 v25, v22, s7, v21
	v_fma_f16 v21, v22, s6, v21
	v_add_f16_e32 v22, v10, v45
	v_fma_f16 v10, v38, -0.5, v10
	v_sub_f16_e32 v38, v15, v20
	v_add_f16_e32 v34, v34, v46
	v_fma_f16 v46, v38, s6, v10
	v_fma_f16 v10, v38, s7, v10
	v_add_f16_e32 v38, v39, v15
	v_add_f16_e32 v15, v15, v20
	;; [unrolled: 1-line block ×3, first 2 shown]
	v_fma_f16 v15, v15, -0.5, v39
	v_sub_f16_e32 v19, v45, v19
	v_add_f16_e32 v39, v13, v17
	v_add_f16_e32 v38, v38, v20
	v_fma_f16 v20, v19, s7, v15
	v_fma_f16 v15, v19, s6, v15
	v_add_f16_e32 v19, v7, v13
	v_fma_f16 v7, v39, -0.5, v7
	v_sub_f16_e32 v39, v16, v18
	v_fma_f16 v45, v39, s6, v7
	v_fma_f16 v7, v39, s7, v7
	v_add_f16_e32 v39, v41, v16
	v_add_f16_e32 v16, v16, v18
	;; [unrolled: 1-line block ×4, first 2 shown]
	v_fma_f16 v16, v16, -0.5, v41
	v_sub_f16_e32 v13, v13, v17
	v_add_f16_e32 v19, v19, v17
	v_fma_f16 v17, v13, s7, v16
	v_fma_f16 v13, v13, s6, v16
	v_pack_b32_f16 v16, v33, v40
	v_pack_b32_f16 v8, v11, v8
	v_pack_b32_f16 v11, v36, v44
	v_pack_b32_f16 v4, v12, v4
	ds_write2_b32 v0, v16, v11 offset1:54
	v_pack_b32_f16 v11, v47, v35
	ds_write2_b32 v30, v8, v4 offset0:64 offset1:118
	v_pack_b32_f16 v8, v48, v25
	v_pack_b32_f16 v4, v34, v37
	ds_write2_b32 v29, v11, v8 offset0:86 offset1:140
	v_pack_b32_f16 v8, v9, v21
	v_pack_b32_f16 v9, v22, v38
	v_add_f16_e32 v39, v39, v18
	ds_write2_b32 v0, v4, v9 offset0:108 offset1:162
	v_pack_b32_f16 v9, v10, v15
	v_pack_b32_f16 v18, v42, v43
	ds_write2_b32 v30, v8, v9 offset0:172 offset1:226
	v_pack_b32_f16 v8, v19, v39
	v_pack_b32_f16 v4, v46, v20
	ds_write2_b32 v28, v8, v18 offset0:88 offset1:160
	v_pack_b32_f16 v8, v45, v17
	ds_write2_b32 v29, v4, v8 offset0:194 offset1:248
	v_pack_b32_f16 v4, v7, v13
	ds_write_b32 v0, v4 offset:3168
	s_and_saveexec_b64 s[2:3], s[0:1]
	s_cbranch_execz .LBB0_29
; %bb.28:
	v_not_b32_e32 v4, 17
	v_mov_b32_e32 v7, 0x10e
	v_cndmask_b32_e64 v4, v4, v7, s[0:1]
	v_add_lshl_u32 v13, v3, v4, 1
	v_lshlrev_b64 v[7:8], 2, v[13:14]
	v_mov_b32_e32 v4, s13
	v_add_co_u32_e64 v7, s[0:1], s12, v7
	v_addc_co_u32_e64 v8, s[0:1], v4, v8, s[0:1]
	global_load_dwordx2 v[7:8], v[7:8], off offset:1140
	s_waitcnt vmcnt(0)
	v_mul_f16_sdwa v4, v24, v8 dst_sel:DWORD dst_unused:UNUSED_PAD src0_sel:DWORD src1_sel:WORD_1
	v_mul_f16_sdwa v9, v23, v7 dst_sel:DWORD dst_unused:UNUSED_PAD src0_sel:DWORD src1_sel:WORD_1
	;; [unrolled: 1-line block ×4, first 2 shown]
	v_fma_f16 v4, v27, v8, v4
	v_fma_f16 v9, v26, v7, v9
	v_fma_f16 v7, v23, v7, -v10
	v_fma_f16 v8, v24, v8, -v11
	v_add_f16_e32 v10, v32, v9
	v_add_f16_e32 v11, v31, v7
	v_sub_f16_e32 v12, v7, v8
	v_add_f16_e32 v13, v9, v4
	v_add_f16_e32 v7, v7, v8
	v_sub_f16_e32 v9, v9, v4
	v_add_f16_e32 v4, v10, v4
	v_add_f16_e32 v8, v11, v8
	v_fma_f16 v10, v13, -0.5, v32
	v_fma_f16 v7, v7, -0.5, v31
	v_fma_f16 v11, v12, s6, v10
	v_fma_f16 v10, v12, s7, v10
	;; [unrolled: 1-line block ×4, first 2 shown]
	v_pack_b32_f16 v4, v8, v4
	ds_write_b32 v0, v4 offset:1080
	v_pack_b32_f16 v4, v7, v10
	v_pack_b32_f16 v7, v12, v11
	ds_write_b32 v0, v4 offset:2232
	ds_write_b32 v0, v7 offset:3384
.LBB0_29:
	s_or_b64 exec, exec, s[2:3]
	s_waitcnt lgkmcnt(0)
	; wave barrier
	s_waitcnt lgkmcnt(0)
	s_and_saveexec_b64 s[0:1], vcc
	s_cbranch_execz .LBB0_31
; %bb.30:
	v_mul_lo_u32 v0, s5, v5
	v_mul_lo_u32 v4, s4, v6
	v_mad_u64_u32 v[5:6], s[0:1], s4, v5, 0
	v_lshl_add_u32 v9, v3, 2, 0
	ds_read2_b32 v[7:8], v9 offset1:54
	v_add3_u32 v6, v6, v4, v0
	v_lshlrev_b64 v[5:6], 2, v[5:6]
	v_mov_b32_e32 v0, s11
	v_add_co_u32_e32 v5, vcc, s10, v5
	v_addc_co_u32_e32 v6, vcc, v0, v6, vcc
	v_lshlrev_b64 v[0:1], 2, v[1:2]
	v_mov_b32_e32 v4, 0
	v_add_co_u32_e32 v2, vcc, v5, v0
	v_addc_co_u32_e32 v10, vcc, v6, v1, vcc
	v_lshlrev_b64 v[0:1], 2, v[3:4]
	ds_read2_b32 v[5:6], v9 offset0:108 offset1:162
	v_add_co_u32_e32 v0, vcc, v2, v0
	v_addc_co_u32_e32 v1, vcc, v10, v1, vcc
	s_waitcnt lgkmcnt(1)
	global_store_dword v[0:1], v7, off
	v_add_u32_e32 v0, 54, v3
	v_mov_b32_e32 v1, v4
	v_lshlrev_b64 v[0:1], 2, v[0:1]
	v_add_u32_e32 v7, 0x400, v9
	v_add_co_u32_e32 v0, vcc, v2, v0
	v_addc_co_u32_e32 v1, vcc, v10, v1, vcc
	global_store_dword v[0:1], v8, off
	v_add_u32_e32 v0, 0x6c, v3
	v_mov_b32_e32 v1, v4
	v_lshlrev_b64 v[0:1], 2, v[0:1]
	v_add_co_u32_e32 v0, vcc, v2, v0
	v_addc_co_u32_e32 v1, vcc, v10, v1, vcc
	s_waitcnt lgkmcnt(0)
	global_store_dword v[0:1], v5, off
	v_add_u32_e32 v0, 0xa2, v3
	v_mov_b32_e32 v1, v4
	v_lshlrev_b64 v[0:1], 2, v[0:1]
	v_add_u32_e32 v5, 0x200, v9
	v_add_co_u32_e32 v0, vcc, v2, v0
	v_addc_co_u32_e32 v1, vcc, v10, v1, vcc
	global_store_dword v[0:1], v6, off
	v_add_u32_e32 v0, 0xd8, v3
	v_mov_b32_e32 v1, v4
	ds_read2_b32 v[5:6], v5 offset0:88 offset1:142
	v_lshlrev_b64 v[0:1], 2, v[0:1]
	v_add_co_u32_e32 v0, vcc, v2, v0
	v_addc_co_u32_e32 v1, vcc, v10, v1, vcc
	s_waitcnt lgkmcnt(0)
	global_store_dword v[0:1], v5, off
	v_add_u32_e32 v0, 0x10e, v3
	v_mov_b32_e32 v1, v4
	v_lshlrev_b64 v[0:1], 2, v[0:1]
	v_add_co_u32_e32 v0, vcc, v2, v0
	v_addc_co_u32_e32 v1, vcc, v10, v1, vcc
	global_store_dword v[0:1], v6, off
	v_add_u32_e32 v0, 0x144, v3
	v_mov_b32_e32 v1, v4
	ds_read2_b32 v[5:6], v7 offset0:68 offset1:122
	v_lshlrev_b64 v[0:1], 2, v[0:1]
	v_add_co_u32_e32 v0, vcc, v2, v0
	v_addc_co_u32_e32 v1, vcc, v10, v1, vcc
	s_waitcnt lgkmcnt(0)
	global_store_dword v[0:1], v5, off
	v_add_u32_e32 v0, 0x17a, v3
	v_mov_b32_e32 v1, v4
	v_lshlrev_b64 v[0:1], 2, v[0:1]
	v_add_co_u32_e32 v0, vcc, v2, v0
	v_addc_co_u32_e32 v1, vcc, v10, v1, vcc
	global_store_dword v[0:1], v6, off
	v_add_u32_e32 v0, 0x1b0, v3
	v_mov_b32_e32 v1, v4
	ds_read2_b32 v[5:6], v7 offset0:176 offset1:230
	v_lshlrev_b64 v[0:1], 2, v[0:1]
	v_add_u32_e32 v7, 0x800, v9
	v_add_co_u32_e32 v0, vcc, v2, v0
	v_addc_co_u32_e32 v1, vcc, v10, v1, vcc
	s_waitcnt lgkmcnt(0)
	global_store_dword v[0:1], v5, off
	v_add_u32_e32 v0, 0x1e6, v3
	v_mov_b32_e32 v1, v4
	v_lshlrev_b64 v[0:1], 2, v[0:1]
	v_add_co_u32_e32 v0, vcc, v2, v0
	v_addc_co_u32_e32 v1, vcc, v10, v1, vcc
	global_store_dword v[0:1], v6, off
	v_add_u32_e32 v0, 0x21c, v3
	v_mov_b32_e32 v1, v4
	ds_read2_b32 v[5:6], v7 offset0:28 offset1:82
	v_lshlrev_b64 v[0:1], 2, v[0:1]
	v_add_co_u32_e32 v0, vcc, v2, v0
	v_addc_co_u32_e32 v1, vcc, v10, v1, vcc
	s_waitcnt lgkmcnt(0)
	global_store_dword v[0:1], v5, off
	v_add_u32_e32 v0, 0x252, v3
	v_mov_b32_e32 v1, v4
	v_lshlrev_b64 v[0:1], 2, v[0:1]
	v_add_co_u32_e32 v0, vcc, v2, v0
	v_addc_co_u32_e32 v1, vcc, v10, v1, vcc
	global_store_dword v[0:1], v6, off
	v_add_u32_e32 v0, 0x288, v3
	v_mov_b32_e32 v1, v4
	ds_read2_b32 v[5:6], v7 offset0:136 offset1:190
	v_lshlrev_b64 v[0:1], 2, v[0:1]
	v_add_co_u32_e32 v0, vcc, v2, v0
	v_addc_co_u32_e32 v1, vcc, v10, v1, vcc
	s_waitcnt lgkmcnt(0)
	global_store_dword v[0:1], v5, off
	v_add_u32_e32 v0, 0x2be, v3
	v_mov_b32_e32 v1, v4
	v_lshlrev_b64 v[0:1], 2, v[0:1]
	v_add_u32_e32 v5, 0xa00, v9
	v_add_co_u32_e32 v0, vcc, v2, v0
	v_addc_co_u32_e32 v1, vcc, v10, v1, vcc
	global_store_dword v[0:1], v6, off
	v_add_u32_e32 v0, 0x2f4, v3
	v_mov_b32_e32 v1, v4
	ds_read2_b32 v[5:6], v5 offset0:116 offset1:170
	v_lshlrev_b64 v[0:1], 2, v[0:1]
	v_add_u32_e32 v3, 0x32a, v3
	v_add_co_u32_e32 v0, vcc, v2, v0
	v_addc_co_u32_e32 v1, vcc, v10, v1, vcc
	s_waitcnt lgkmcnt(0)
	global_store_dword v[0:1], v5, off
	v_lshlrev_b64 v[0:1], 2, v[3:4]
	v_add_co_u32_e32 v0, vcc, v2, v0
	v_addc_co_u32_e32 v1, vcc, v10, v1, vcc
	global_store_dword v[0:1], v6, off
.LBB0_31:
	s_endpgm
	.section	.rodata,"a",@progbits
	.p2align	6, 0x0
	.amdhsa_kernel fft_rtc_fwd_len864_factors_3_6_16_3_wgs_54_tpt_54_halfLds_half_op_CI_CI_unitstride_sbrr_C2R_dirReg
		.amdhsa_group_segment_fixed_size 0
		.amdhsa_private_segment_fixed_size 0
		.amdhsa_kernarg_size 104
		.amdhsa_user_sgpr_count 6
		.amdhsa_user_sgpr_private_segment_buffer 1
		.amdhsa_user_sgpr_dispatch_ptr 0
		.amdhsa_user_sgpr_queue_ptr 0
		.amdhsa_user_sgpr_kernarg_segment_ptr 1
		.amdhsa_user_sgpr_dispatch_id 0
		.amdhsa_user_sgpr_flat_scratch_init 0
		.amdhsa_user_sgpr_private_segment_size 0
		.amdhsa_uses_dynamic_stack 0
		.amdhsa_system_sgpr_private_segment_wavefront_offset 0
		.amdhsa_system_sgpr_workgroup_id_x 1
		.amdhsa_system_sgpr_workgroup_id_y 0
		.amdhsa_system_sgpr_workgroup_id_z 0
		.amdhsa_system_sgpr_workgroup_info 0
		.amdhsa_system_vgpr_workitem_id 0
		.amdhsa_next_free_vgpr 64
		.amdhsa_next_free_sgpr 28
		.amdhsa_reserve_vcc 1
		.amdhsa_reserve_flat_scratch 0
		.amdhsa_float_round_mode_32 0
		.amdhsa_float_round_mode_16_64 0
		.amdhsa_float_denorm_mode_32 3
		.amdhsa_float_denorm_mode_16_64 3
		.amdhsa_dx10_clamp 1
		.amdhsa_ieee_mode 1
		.amdhsa_fp16_overflow 0
		.amdhsa_exception_fp_ieee_invalid_op 0
		.amdhsa_exception_fp_denorm_src 0
		.amdhsa_exception_fp_ieee_div_zero 0
		.amdhsa_exception_fp_ieee_overflow 0
		.amdhsa_exception_fp_ieee_underflow 0
		.amdhsa_exception_fp_ieee_inexact 0
		.amdhsa_exception_int_div_zero 0
	.end_amdhsa_kernel
	.text
.Lfunc_end0:
	.size	fft_rtc_fwd_len864_factors_3_6_16_3_wgs_54_tpt_54_halfLds_half_op_CI_CI_unitstride_sbrr_C2R_dirReg, .Lfunc_end0-fft_rtc_fwd_len864_factors_3_6_16_3_wgs_54_tpt_54_halfLds_half_op_CI_CI_unitstride_sbrr_C2R_dirReg
                                        ; -- End function
	.section	.AMDGPU.csdata,"",@progbits
; Kernel info:
; codeLenInByte = 10356
; NumSgprs: 32
; NumVgprs: 64
; ScratchSize: 0
; MemoryBound: 0
; FloatMode: 240
; IeeeMode: 1
; LDSByteSize: 0 bytes/workgroup (compile time only)
; SGPRBlocks: 3
; VGPRBlocks: 15
; NumSGPRsForWavesPerEU: 32
; NumVGPRsForWavesPerEU: 64
; Occupancy: 4
; WaveLimiterHint : 1
; COMPUTE_PGM_RSRC2:SCRATCH_EN: 0
; COMPUTE_PGM_RSRC2:USER_SGPR: 6
; COMPUTE_PGM_RSRC2:TRAP_HANDLER: 0
; COMPUTE_PGM_RSRC2:TGID_X_EN: 1
; COMPUTE_PGM_RSRC2:TGID_Y_EN: 0
; COMPUTE_PGM_RSRC2:TGID_Z_EN: 0
; COMPUTE_PGM_RSRC2:TIDIG_COMP_CNT: 0
	.type	__hip_cuid_67001ca20b4ce96e,@object ; @__hip_cuid_67001ca20b4ce96e
	.section	.bss,"aw",@nobits
	.globl	__hip_cuid_67001ca20b4ce96e
__hip_cuid_67001ca20b4ce96e:
	.byte	0                               ; 0x0
	.size	__hip_cuid_67001ca20b4ce96e, 1

	.ident	"AMD clang version 19.0.0git (https://github.com/RadeonOpenCompute/llvm-project roc-6.4.0 25133 c7fe45cf4b819c5991fe208aaa96edf142730f1d)"
	.section	".note.GNU-stack","",@progbits
	.addrsig
	.addrsig_sym __hip_cuid_67001ca20b4ce96e
	.amdgpu_metadata
---
amdhsa.kernels:
  - .args:
      - .actual_access:  read_only
        .address_space:  global
        .offset:         0
        .size:           8
        .value_kind:     global_buffer
      - .offset:         8
        .size:           8
        .value_kind:     by_value
      - .actual_access:  read_only
        .address_space:  global
        .offset:         16
        .size:           8
        .value_kind:     global_buffer
      - .actual_access:  read_only
        .address_space:  global
        .offset:         24
        .size:           8
        .value_kind:     global_buffer
      - .actual_access:  read_only
        .address_space:  global
        .offset:         32
        .size:           8
        .value_kind:     global_buffer
      - .offset:         40
        .size:           8
        .value_kind:     by_value
      - .actual_access:  read_only
        .address_space:  global
        .offset:         48
        .size:           8
        .value_kind:     global_buffer
      - .actual_access:  read_only
        .address_space:  global
        .offset:         56
        .size:           8
        .value_kind:     global_buffer
      - .offset:         64
        .size:           4
        .value_kind:     by_value
      - .actual_access:  read_only
        .address_space:  global
        .offset:         72
        .size:           8
        .value_kind:     global_buffer
      - .actual_access:  read_only
        .address_space:  global
        .offset:         80
        .size:           8
        .value_kind:     global_buffer
      - .actual_access:  read_only
        .address_space:  global
        .offset:         88
        .size:           8
        .value_kind:     global_buffer
      - .actual_access:  write_only
        .address_space:  global
        .offset:         96
        .size:           8
        .value_kind:     global_buffer
    .group_segment_fixed_size: 0
    .kernarg_segment_align: 8
    .kernarg_segment_size: 104
    .language:       OpenCL C
    .language_version:
      - 2
      - 0
    .max_flat_workgroup_size: 54
    .name:           fft_rtc_fwd_len864_factors_3_6_16_3_wgs_54_tpt_54_halfLds_half_op_CI_CI_unitstride_sbrr_C2R_dirReg
    .private_segment_fixed_size: 0
    .sgpr_count:     32
    .sgpr_spill_count: 0
    .symbol:         fft_rtc_fwd_len864_factors_3_6_16_3_wgs_54_tpt_54_halfLds_half_op_CI_CI_unitstride_sbrr_C2R_dirReg.kd
    .uniform_work_group_size: 1
    .uses_dynamic_stack: false
    .vgpr_count:     64
    .vgpr_spill_count: 0
    .wavefront_size: 64
amdhsa.target:   amdgcn-amd-amdhsa--gfx906
amdhsa.version:
  - 1
  - 2
...

	.end_amdgpu_metadata
